;; amdgpu-corpus repo=ROCm/rocFFT kind=compiled arch=gfx906 opt=O3
	.text
	.amdgcn_target "amdgcn-amd-amdhsa--gfx906"
	.amdhsa_code_object_version 6
	.protected	bluestein_single_fwd_len2401_dim1_sp_op_CI_CI ; -- Begin function bluestein_single_fwd_len2401_dim1_sp_op_CI_CI
	.globl	bluestein_single_fwd_len2401_dim1_sp_op_CI_CI
	.p2align	8
	.type	bluestein_single_fwd_len2401_dim1_sp_op_CI_CI,@function
bluestein_single_fwd_len2401_dim1_sp_op_CI_CI: ; @bluestein_single_fwd_len2401_dim1_sp_op_CI_CI
; %bb.0:
	s_load_dwordx4 s[12:15], s[4:5], 0x28
	s_mov_b64 s[22:23], s[2:3]
	v_mul_u32_u24_e32 v3, 0x53a, v0
	s_mov_b64 s[20:21], s[0:1]
	v_add_u32_sdwa v1, s6, v3 dst_sel:DWORD dst_unused:UNUSED_PAD src0_sel:DWORD src1_sel:WORD_1
	v_mov_b32_e32 v2, 0
	s_add_u32 s20, s20, s7
	s_waitcnt lgkmcnt(0)
	v_cmp_gt_u64_e32 vcc, s[12:13], v[1:2]
	s_addc_u32 s21, s21, 0
	s_and_saveexec_b64 s[0:1], vcc
	s_cbranch_execz .LBB0_2
; %bb.1:
	s_load_dwordx4 s[8:11], s[4:5], 0x0
	s_load_dwordx4 s[16:19], s[4:5], 0x18
	s_load_dwordx2 s[12:13], s[4:5], 0x38
	v_mov_b32_e32 v2, 49
	v_mul_lo_u16_sdwa v2, v3, v2 dst_sel:DWORD dst_unused:UNUSED_PAD src0_sel:WORD_1 src1_sel:DWORD
	v_sub_u16_e32 v113, v0, v2
	s_waitcnt lgkmcnt(0)
	s_load_dwordx4 s[4:7], s[16:17], 0x0
	s_load_dwordx4 s[0:3], s[18:19], 0x0
	v_lshlrev_b32_e32 v66, 3, v113
	v_add_u32_e32 v201, 0x800, v66
	v_add_u32_e32 v206, 0x2000, v66
	;; [unrolled: 1-line block ×3, first 2 shown]
	s_waitcnt lgkmcnt(0)
	v_mad_u64_u32 v[4:5], s[16:17], s2, v1, 0
	v_add_u32_e32 v208, 0x4000, v66
	v_add_u32_e32 v209, 0x1800, v66
	v_mov_b32_e32 v0, v5
	v_mad_u64_u32 v[2:3], s[2:3], s3, v1, v[0:1]
	v_add_u32_e32 v210, 0x3800, v66
	v_mov_b32_e32 v199, v113
	v_mov_b32_e32 v5, v2
	v_mad_u64_u32 v[2:3], s[2:3], s6, v1, 0
	buffer_store_dword v4, off, s[20:23], 0 offset:344 ; 4-byte Folded Spill
	s_nop 0
	buffer_store_dword v5, off, s[20:23], 0 offset:348 ; 4-byte Folded Spill
	s_movk_i32 s6, 0x3000
	v_mov_b32_e32 v0, v3
	v_mad_u64_u32 v[0:1], s[2:3], s7, v1, v[0:1]
	s_movk_i32 s7, 0x2000
	v_mov_b32_e32 v3, v0
	v_mad_u64_u32 v[0:1], s[2:3], s4, v113, 0
	v_mad_u64_u32 v[4:5], s[2:3], s5, v113, v[1:2]
	v_lshlrev_b64 v[2:3], 3, v[2:3]
	s_mul_i32 s2, s5, 0xab8
	v_mov_b32_e32 v1, v4
	v_add_co_u32_e32 v2, vcc, s14, v2
	v_mov_b32_e32 v4, s15
	v_lshlrev_b64 v[0:1], 3, v[0:1]
	v_addc_co_u32_e32 v3, vcc, v4, v3, vcc
	v_add_co_u32_e32 v0, vcc, v2, v0
	v_addc_co_u32_e32 v1, vcc, v3, v1, vcc
	v_add_co_u32_e32 v13, vcc, s8, v66
	v_mov_b32_e32 v4, s9
	v_addc_co_u32_e32 v11, vcc, 0, v4, vcc
	global_load_dwordx2 v[4:5], v66, s[8:9]
	global_load_dwordx2 v[2:3], v[0:1], off
	s_mul_hi_u32 s3, s4, 0xab8
	s_add_i32 s2, s3, s2
	s_mul_i32 s3, s4, 0xab8
	v_add_co_u32_e32 v0, vcc, s3, v0
	s_movk_i32 s14, 0x1000
	v_mov_b32_e32 v14, v11
	v_mov_b32_e32 v15, v13
	;; [unrolled: 1-line block ×3, first 2 shown]
	s_movk_i32 s15, 0x4000
	s_mulk_i32 s5, 0xc138
	s_waitcnt vmcnt(1)
	buffer_store_dword v4, off, s[20:23], 0 offset:392 ; 4-byte Folded Spill
	s_nop 0
	buffer_store_dword v5, off, s[20:23], 0 offset:396 ; 4-byte Folded Spill
	s_waitcnt vmcnt(2)
	v_mul_f32_e32 v6, v3, v5
	v_fmac_f32_e32 v6, v2, v4
	v_mul_f32_e32 v2, v2, v5
	v_fma_f32 v7, v3, v4, -v2
	v_mov_b32_e32 v2, s2
	v_addc_co_u32_e32 v1, vcc, v1, v2, vcc
	global_load_dwordx2 v[2:3], v[0:1], off
	global_load_dwordx2 v[8:9], v66, s[8:9] offset:2744
	v_add_co_u32_e32 v0, vcc, s3, v0
	s_waitcnt vmcnt(0)
	buffer_store_dword v8, off, s[20:23], 0 offset:376 ; 4-byte Folded Spill
	s_nop 0
	buffer_store_dword v9, off, s[20:23], 0 offset:380 ; 4-byte Folded Spill
	v_mul_f32_e32 v4, v3, v9
	v_fmac_f32_e32 v4, v2, v8
	v_mul_f32_e32 v2, v2, v9
	v_fma_f32 v5, v3, v8, -v2
	v_mov_b32_e32 v2, s2
	v_addc_co_u32_e32 v1, vcc, v1, v2, vcc
	ds_write_b64 v66, v[4:5] offset:2744
	v_add_co_u32_e32 v4, vcc, s14, v13
	v_addc_co_u32_e32 v5, vcc, 0, v11, vcc
	global_load_dwordx2 v[9:10], v[4:5], off offset:1392
	global_load_dwordx2 v[2:3], v[0:1], off
	v_add_co_u32_e32 v0, vcc, s3, v0
	s_waitcnt vmcnt(1)
	buffer_store_dword v9, off, s[20:23], 0 offset:360 ; 4-byte Folded Spill
	s_nop 0
	buffer_store_dword v10, off, s[20:23], 0 offset:364 ; 4-byte Folded Spill
	s_waitcnt vmcnt(2)
	v_mul_f32_e32 v8, v3, v10
	v_fmac_f32_e32 v8, v2, v9
	v_mul_f32_e32 v2, v2, v10
	v_fma_f32 v9, v3, v9, -v2
	v_mov_b32_e32 v2, s2
	v_addc_co_u32_e32 v1, vcc, v1, v2, vcc
	v_add_co_u32_e32 v2, vcc, s7, v13
	v_addc_co_u32_e32 v3, vcc, 0, v11, vcc
	global_load_dwordx2 v[11:12], v[2:3], off offset:40
	ds_write_b64 v66, v[8:9] offset:5488
	global_load_dwordx2 v[8:9], v[0:1], off
	v_add_co_u32_e32 v0, vcc, s3, v0
	s_waitcnt vmcnt(1)
	buffer_store_dword v11, off, s[20:23], 0 offset:352 ; 4-byte Folded Spill
	s_nop 0
	buffer_store_dword v12, off, s[20:23], 0 offset:356 ; 4-byte Folded Spill
	s_waitcnt vmcnt(2)
	v_mul_f32_e32 v10, v9, v12
	v_fmac_f32_e32 v10, v8, v11
	v_mul_f32_e32 v8, v8, v12
	v_fma_f32 v11, v9, v11, -v8
	v_mov_b32_e32 v8, s2
	ds_write_b64 v66, v[10:11] offset:8232
	v_addc_co_u32_e32 v1, vcc, v1, v8, vcc
	global_load_dwordx2 v[8:9], v[0:1], off
	global_load_dwordx2 v[11:12], v[2:3], off offset:2784
	s_waitcnt vmcnt(0)
	buffer_store_dword v11, off, s[20:23], 0 offset:336 ; 4-byte Folded Spill
	s_nop 0
	buffer_store_dword v12, off, s[20:23], 0 offset:340 ; 4-byte Folded Spill
	buffer_store_dword v15, off, s[20:23], 0 offset:976 ; 4-byte Folded Spill
	;; [unrolled: 1-line block ×3, first 2 shown]
	v_mul_f32_e32 v10, v9, v12
	v_fmac_f32_e32 v10, v8, v11
	v_mul_f32_e32 v8, v8, v12
	v_fma_f32 v11, v9, v11, -v8
	v_add_co_u32_e32 v8, vcc, s3, v0
	v_mov_b32_e32 v0, s2
	v_addc_co_u32_e32 v9, vcc, v1, v0, vcc
	v_add_co_u32_e32 v0, vcc, s6, v15
	v_addc_co_u32_e32 v1, vcc, 0, v14, vcc
	global_load_dwordx2 v[13:14], v[0:1], off offset:1432
	ds_write_b64 v66, v[10:11] offset:10976
	global_load_dwordx2 v[10:11], v[8:9], off
	v_add_co_u32_e32 v8, vcc, s3, v8
	s_waitcnt vmcnt(1)
	buffer_store_dword v13, off, s[20:23], 0 offset:312 ; 4-byte Folded Spill
	s_nop 0
	buffer_store_dword v14, off, s[20:23], 0 offset:316 ; 4-byte Folded Spill
	s_waitcnt vmcnt(2)
	v_mul_f32_e32 v12, v11, v14
	v_fmac_f32_e32 v12, v10, v13
	v_mul_f32_e32 v10, v10, v14
	v_fma_f32 v13, v11, v13, -v10
	v_mov_b32_e32 v10, s2
	v_addc_co_u32_e32 v9, vcc, v9, v10, vcc
	v_add_co_u32_e32 v17, vcc, s15, v15
	v_addc_co_u32_e32 v18, vcc, 0, v16, vcc
	ds_write_b64 v66, v[12:13] offset:13720
	global_load_dwordx2 v[13:14], v[17:18], off offset:80
	global_load_dwordx2 v[10:11], v[8:9], off
	s_mul_hi_u32 s15, s4, 0xffffc138
	s_sub_i32 s15, s15, s4
	v_add_co_u32_e32 v119, vcc, 49, v113
	s_add_i32 s5, s15, s5
	s_mulk_i32 s4, 0xc138
	v_add_co_u32_e32 v8, vcc, s4, v8
	v_mov_b32_e32 v28, v18
	v_mov_b32_e32 v27, v17
	s_movk_i32 s15, 0x62
	s_waitcnt vmcnt(1)
	buffer_store_dword v13, off, s[20:23], 0 offset:328 ; 4-byte Folded Spill
	s_nop 0
	buffer_store_dword v14, off, s[20:23], 0 offset:332 ; 4-byte Folded Spill
	s_waitcnt vmcnt(2)
	v_mul_f32_e32 v12, v11, v14
	v_fmac_f32_e32 v12, v10, v13
	v_mul_f32_e32 v10, v10, v14
	v_fma_f32 v13, v11, v13, -v10
	v_mov_b32_e32 v10, s5
	ds_write_b64 v66, v[12:13] offset:16464
	v_addc_co_u32_e32 v9, vcc, v9, v10, vcc
	global_load_dwordx2 v[10:11], v[8:9], off
	global_load_dwordx2 v[13:14], v66, s[8:9] offset:392
	s_waitcnt vmcnt(0)
	buffer_store_dword v13, off, s[20:23], 0 offset:368 ; 4-byte Folded Spill
	s_nop 0
	buffer_store_dword v14, off, s[20:23], 0 offset:372 ; 4-byte Folded Spill
	v_mul_f32_e32 v12, v11, v14
	v_fmac_f32_e32 v12, v10, v13
	v_mul_f32_e32 v10, v10, v14
	v_fma_f32 v13, v11, v13, -v10
	ds_write2_b64 v66, v[6:7], v[12:13] offset1:49
	v_add_co_u32_e32 v6, vcc, s3, v8
	v_mov_b32_e32 v7, s2
	v_addc_co_u32_e32 v7, vcc, v9, v7, vcc
	global_load_dwordx2 v[8:9], v[6:7], off
	global_load_dwordx2 v[11:12], v66, s[8:9] offset:3136
	v_add_co_u32_e32 v6, vcc, s3, v6
	s_waitcnt vmcnt(0)
	buffer_store_dword v11, off, s[20:23], 0 offset:320 ; 4-byte Folded Spill
	s_nop 0
	buffer_store_dword v12, off, s[20:23], 0 offset:324 ; 4-byte Folded Spill
	v_mul_f32_e32 v10, v9, v12
	v_fmac_f32_e32 v10, v8, v11
	v_mul_f32_e32 v8, v8, v12
	v_fma_f32 v11, v9, v11, -v8
	v_mov_b32_e32 v8, s2
	v_addc_co_u32_e32 v7, vcc, v7, v8, vcc
	global_load_dwordx2 v[8:9], v[6:7], off
	global_load_dwordx2 v[13:14], v[4:5], off offset:1784
	v_add_co_u32_e32 v6, vcc, s3, v6
	s_waitcnt vmcnt(0)
	buffer_store_dword v13, off, s[20:23], 0 offset:304 ; 4-byte Folded Spill
	s_nop 0
	buffer_store_dword v14, off, s[20:23], 0 offset:308 ; 4-byte Folded Spill
	v_mul_f32_e32 v12, v9, v14
	v_fmac_f32_e32 v12, v8, v13
	v_mul_f32_e32 v8, v8, v14
	v_fma_f32 v13, v9, v13, -v8
	v_mov_b32_e32 v8, s2
	v_addc_co_u32_e32 v7, vcc, v7, v8, vcc
	global_load_dwordx2 v[8:9], v[6:7], off
	global_load_dwordx2 v[15:16], v[2:3], off offset:432
	;; [unrolled: 13-line block ×5, first 2 shown]
	v_add_co_u32_e32 v78, vcc, s15, v113
	v_add_co_u32_e32 v6, vcc, s4, v6
	s_movk_i32 s15, 0x93
	s_waitcnt vmcnt(0)
	buffer_store_dword v21, off, s[20:23], 0 offset:200 ; 4-byte Folded Spill
	s_nop 0
	buffer_store_dword v22, off, s[20:23], 0 offset:204 ; 4-byte Folded Spill
	v_mul_f32_e32 v20, v9, v22
	v_fmac_f32_e32 v20, v8, v21
	v_mul_f32_e32 v8, v8, v22
	v_fma_f32 v21, v9, v21, -v8
	v_mov_b32_e32 v8, s5
	v_addc_co_u32_e32 v7, vcc, v7, v8, vcc
	global_load_dwordx2 v[8:9], v[6:7], off
	global_load_dwordx2 v[23:24], v66, s[8:9] offset:784
	v_add_co_u32_e32 v6, vcc, s3, v6
	s_waitcnt vmcnt(0)
	buffer_store_dword v23, off, s[20:23], 0 offset:280 ; 4-byte Folded Spill
	s_nop 0
	buffer_store_dword v24, off, s[20:23], 0 offset:284 ; 4-byte Folded Spill
	v_mul_f32_e32 v22, v9, v24
	v_fmac_f32_e32 v22, v8, v23
	v_mul_f32_e32 v8, v8, v24
	v_fma_f32 v23, v9, v23, -v8
	v_mov_b32_e32 v8, s2
	v_addc_co_u32_e32 v7, vcc, v7, v8, vcc
	global_load_dwordx2 v[8:9], v[6:7], off
	global_load_dwordx2 v[25:26], v66, s[8:9] offset:3528
	v_add_co_u32_e32 v6, vcc, s3, v6
	s_waitcnt vmcnt(0)
	buffer_store_dword v25, off, s[20:23], 0 offset:248 ; 4-byte Folded Spill
	s_nop 0
	buffer_store_dword v26, off, s[20:23], 0 offset:252 ; 4-byte Folded Spill
	v_mul_f32_e32 v24, v9, v26
	v_fmac_f32_e32 v24, v8, v25
	v_mul_f32_e32 v8, v8, v26
	v_fma_f32 v25, v9, v25, -v8
	v_mov_b32_e32 v8, s2
	ds_write2_b64 v201, v[10:11], v[24:25] offset0:136 offset1:185
	v_addc_co_u32_e32 v7, vcc, v7, v8, vcc
	global_load_dwordx2 v[8:9], v[6:7], off
	global_load_dwordx2 v[24:25], v[4:5], off offset:2176
	v_add_co_u32_e32 v6, vcc, s3, v6
	s_waitcnt vmcnt(0)
	buffer_store_dword v24, off, s[20:23], 0 offset:216 ; 4-byte Folded Spill
	s_nop 0
	buffer_store_dword v25, off, s[20:23], 0 offset:220 ; 4-byte Folded Spill
	v_mul_f32_e32 v10, v9, v25
	v_fmac_f32_e32 v10, v8, v24
	v_mul_f32_e32 v8, v8, v25
	v_fma_f32 v11, v9, v24, -v8
	v_add_u32_e32 v8, 0x1400, v66
	ds_write2_b64 v8, v[12:13], v[10:11] offset0:95 offset1:144
	v_mov_b32_e32 v8, s2
	v_addc_co_u32_e32 v7, vcc, v7, v8, vcc
	global_load_dwordx2 v[8:9], v[6:7], off
	global_load_dwordx2 v[10:11], v[2:3], off offset:824
	v_add_co_u32_e32 v6, vcc, s3, v6
	s_waitcnt vmcnt(0)
	v_mov_b32_e32 v12, v11
	v_mov_b32_e32 v11, v10
	buffer_store_dword v11, off, s[20:23], 0 offset:256 ; 4-byte Folded Spill
	s_nop 0
	buffer_store_dword v12, off, s[20:23], 0 offset:260 ; 4-byte Folded Spill
	v_mul_f32_e32 v10, v9, v12
	v_fmac_f32_e32 v10, v8, v11
	v_mul_f32_e32 v8, v8, v12
	v_fma_f32 v11, v9, v11, -v8
	v_mov_b32_e32 v8, s2
	ds_write2_b64 v206, v[14:15], v[10:11] offset0:54 offset1:103
	v_addc_co_u32_e32 v7, vcc, v7, v8, vcc
	global_load_dwordx2 v[8:9], v[6:7], off
	global_load_dwordx2 v[11:12], v[2:3], off offset:3568
	s_waitcnt vmcnt(0)
	buffer_store_dword v11, off, s[20:23], 0 offset:232 ; 4-byte Folded Spill
	s_nop 0
	buffer_store_dword v12, off, s[20:23], 0 offset:236 ; 4-byte Folded Spill
	v_add_co_u32_e32 v6, vcc, s3, v6
	v_mul_f32_e32 v10, v9, v12
	v_fmac_f32_e32 v10, v8, v11
	v_mul_f32_e32 v8, v8, v12
	v_fma_f32 v11, v9, v11, -v8
	v_mov_b32_e32 v8, s2
	ds_write2_b64 v207, v[16:17], v[10:11] offset0:141 offset1:190
	v_addc_co_u32_e32 v7, vcc, v7, v8, vcc
	global_load_dwordx2 v[8:9], v[6:7], off
	global_load_dwordx2 v[11:12], v[0:1], off offset:2216
	s_waitcnt vmcnt(0)
	buffer_store_dword v11, off, s[20:23], 0 offset:208 ; 4-byte Folded Spill
	s_nop 0
	buffer_store_dword v12, off, s[20:23], 0 offset:212 ; 4-byte Folded Spill
	v_add_co_u32_e32 v6, vcc, s3, v6
	v_mul_f32_e32 v10, v9, v12
	v_fmac_f32_e32 v10, v8, v11
	v_mul_f32_e32 v8, v8, v12
	v_fma_f32 v11, v9, v11, -v8
	v_add_u32_e32 v8, 0x3400, v66
	ds_write2_b64 v8, v[18:19], v[10:11] offset0:100 offset1:149
	v_mov_b32_e32 v29, v8
	v_mov_b32_e32 v8, s2
	v_addc_co_u32_e32 v7, vcc, v7, v8, vcc
	global_load_dwordx2 v[8:9], v[6:7], off
	global_load_dwordx2 v[11:12], v[27:28], off offset:864
	s_waitcnt vmcnt(0)
	buffer_store_dword v11, off, s[20:23], 0 offset:184 ; 4-byte Folded Spill
	s_nop 0
	buffer_store_dword v12, off, s[20:23], 0 offset:188 ; 4-byte Folded Spill
	v_add_co_u32_e32 v79, vcc, s15, v113
	v_add_co_u32_e32 v6, vcc, s4, v6
	s_movk_i32 s15, 0xc4
	v_mov_b32_e32 v115, v29
	v_mov_b32_e32 v205, v115
	v_mul_f32_e32 v10, v9, v12
	v_fmac_f32_e32 v10, v8, v11
	v_mul_f32_e32 v8, v8, v12
	v_fma_f32 v11, v9, v11, -v8
	v_mov_b32_e32 v8, s5
	ds_write2_b64 v208, v[20:21], v[10:11] offset0:59 offset1:108
	v_addc_co_u32_e32 v7, vcc, v7, v8, vcc
	global_load_dwordx2 v[8:9], v[6:7], off
	global_load_dwordx2 v[11:12], v66, s[8:9] offset:1176
	s_waitcnt vmcnt(0)
	buffer_store_dword v11, off, s[20:23], 0 offset:264 ; 4-byte Folded Spill
	s_nop 0
	buffer_store_dword v12, off, s[20:23], 0 offset:268 ; 4-byte Folded Spill
	v_add_co_u32_e32 v6, vcc, s3, v6
	v_mul_f32_e32 v10, v9, v12
	v_fmac_f32_e32 v10, v8, v11
	v_mul_f32_e32 v8, v8, v12
	v_fma_f32 v11, v9, v11, -v8
	v_mov_b32_e32 v8, s2
	ds_write2_b64 v66, v[22:23], v[10:11] offset0:98 offset1:147
	v_addc_co_u32_e32 v7, vcc, v7, v8, vcc
	global_load_dwordx2 v[8:9], v[6:7], off
	global_load_dwordx2 v[11:12], v66, s[8:9] offset:3920
	s_waitcnt vmcnt(0)
	buffer_store_dword v11, off, s[20:23], 0 offset:224 ; 4-byte Folded Spill
	s_nop 0
	buffer_store_dword v12, off, s[20:23], 0 offset:228 ; 4-byte Folded Spill
	v_add_co_u32_e32 v6, vcc, s3, v6
	v_mul_f32_e32 v10, v9, v12
	v_fmac_f32_e32 v10, v8, v11
	v_mul_f32_e32 v8, v8, v12
	v_fma_f32 v11, v9, v11, -v8
	v_mov_b32_e32 v8, s2
	v_addc_co_u32_e32 v7, vcc, v7, v8, vcc
	global_load_dwordx2 v[8:9], v[6:7], off
	global_load_dwordx2 v[13:14], v[4:5], off offset:2568
	s_waitcnt vmcnt(0)
	buffer_store_dword v13, off, s[20:23], 0 offset:192 ; 4-byte Folded Spill
	s_nop 0
	buffer_store_dword v14, off, s[20:23], 0 offset:196 ; 4-byte Folded Spill
	v_add_co_u32_e32 v6, vcc, s3, v6
	v_mul_f32_e32 v12, v9, v14
	v_fmac_f32_e32 v12, v8, v13
	v_mul_f32_e32 v8, v8, v14
	v_fma_f32 v13, v9, v13, -v8
	v_mov_b32_e32 v8, s2
	v_addc_co_u32_e32 v7, vcc, v7, v8, vcc
	global_load_dwordx2 v[8:9], v[6:7], off
	global_load_dwordx2 v[15:16], v[2:3], off offset:1216
	;; [unrolled: 13-line block ×5, first 2 shown]
	s_waitcnt vmcnt(0)
	buffer_store_dword v21, off, s[20:23], 0 offset:104 ; 4-byte Folded Spill
	s_nop 0
	buffer_store_dword v22, off, s[20:23], 0 offset:108 ; 4-byte Folded Spill
	v_add_co_u32_e32 v88, vcc, s15, v113
	v_add_co_u32_e32 v6, vcc, s4, v6
	s_movk_i32 s15, 0xf5
	v_mul_f32_e32 v20, v9, v22
	v_fmac_f32_e32 v20, v8, v21
	v_mul_f32_e32 v8, v8, v22
	v_fma_f32 v21, v9, v21, -v8
	v_mov_b32_e32 v8, s5
	v_addc_co_u32_e32 v7, vcc, v7, v8, vcc
	global_load_dwordx2 v[8:9], v[6:7], off
	global_load_dwordx2 v[23:24], v66, s[8:9] offset:1568
	s_waitcnt vmcnt(0)
	buffer_store_dword v23, off, s[20:23], 0 offset:168 ; 4-byte Folded Spill
	s_nop 0
	buffer_store_dword v24, off, s[20:23], 0 offset:172 ; 4-byte Folded Spill
	v_add_co_u32_e32 v6, vcc, s3, v6
	v_mul_f32_e32 v22, v9, v24
	v_fmac_f32_e32 v22, v8, v23
	v_mul_f32_e32 v8, v8, v24
	v_fma_f32 v23, v9, v23, -v8
	v_mov_b32_e32 v8, s2
	v_addc_co_u32_e32 v7, vcc, v7, v8, vcc
	global_load_dwordx2 v[8:9], v[6:7], off
	global_load_dwordx2 v[25:26], v[4:5], off offset:216
	s_waitcnt vmcnt(0)
	buffer_store_dword v25, off, s[20:23], 0 offset:144 ; 4-byte Folded Spill
	s_nop 0
	buffer_store_dword v26, off, s[20:23], 0 offset:148 ; 4-byte Folded Spill
	v_add_co_u32_e32 v6, vcc, s3, v6
	v_mul_f32_e32 v24, v9, v26
	v_fmac_f32_e32 v24, v8, v25
	v_mul_f32_e32 v8, v8, v26
	v_fma_f32 v25, v9, v25, -v8
	v_add_u32_e32 v8, 0xc00, v66
	ds_write2_b64 v8, v[10:11], v[24:25] offset0:106 offset1:155
	v_mov_b32_e32 v26, v8
	v_mov_b32_e32 v8, s2
	v_addc_co_u32_e32 v7, vcc, v7, v8, vcc
	global_load_dwordx2 v[8:9], v[6:7], off
	global_load_dwordx2 v[24:25], v[4:5], off offset:2960
	s_waitcnt vmcnt(0)
	buffer_store_dword v24, off, s[20:23], 0 offset:112 ; 4-byte Folded Spill
	s_nop 0
	buffer_store_dword v25, off, s[20:23], 0 offset:116 ; 4-byte Folded Spill
	v_add_co_u32_e32 v6, vcc, s3, v6
	v_mov_b32_e32 v117, v26
	v_mov_b32_e32 v213, v117
	v_mul_f32_e32 v10, v9, v25
	v_fmac_f32_e32 v10, v8, v24
	v_mul_f32_e32 v8, v8, v25
	v_fma_f32 v11, v9, v24, -v8
	v_mov_b32_e32 v8, s2
	ds_write2_b64 v209, v[12:13], v[10:11] offset0:65 offset1:114
	v_addc_co_u32_e32 v7, vcc, v7, v8, vcc
	global_load_dwordx2 v[8:9], v[6:7], off
	global_load_dwordx2 v[11:12], v[2:3], off offset:1608
	s_waitcnt vmcnt(0)
	buffer_store_dword v11, off, s[20:23], 0 offset:64 ; 4-byte Folded Spill
	s_nop 0
	buffer_store_dword v12, off, s[20:23], 0 offset:68 ; 4-byte Folded Spill
	v_add_co_u32_e32 v6, vcc, s3, v6
	v_mul_f32_e32 v10, v9, v12
	v_fmac_f32_e32 v10, v8, v11
	v_mul_f32_e32 v8, v8, v12
	v_fma_f32 v11, v9, v11, -v8
	v_mov_b32_e32 v8, s2
	ds_write2_b64 v206, v[14:15], v[10:11] offset0:152 offset1:201
	v_addc_co_u32_e32 v7, vcc, v7, v8, vcc
	global_load_dwordx2 v[8:9], v[6:7], off
	global_load_dwordx2 v[10:11], v[0:1], off offset:256
	v_add_co_u32_e32 v6, vcc, s3, v6
	s_waitcnt vmcnt(0)
	v_mov_b32_e32 v12, v11
	v_mov_b32_e32 v11, v10
	buffer_store_dword v11, off, s[20:23], 0 offset:128 ; 4-byte Folded Spill
	s_nop 0
	buffer_store_dword v12, off, s[20:23], 0 offset:132 ; 4-byte Folded Spill
	v_mul_f32_e32 v10, v9, v12
	v_fmac_f32_e32 v10, v8, v11
	v_mul_f32_e32 v8, v8, v12
	v_fma_f32 v11, v9, v11, -v8
	v_add_u32_e32 v8, 0x2c00, v66
	ds_write2_b64 v8, v[16:17], v[10:11] offset0:111 offset1:160
	v_mov_b32_e32 v8, s2
	v_addc_co_u32_e32 v7, vcc, v7, v8, vcc
	global_load_dwordx2 v[8:9], v[6:7], off
	global_load_dwordx2 v[11:12], v[0:1], off offset:3000
	s_waitcnt vmcnt(0)
	buffer_store_dword v11, off, s[20:23], 0 offset:80 ; 4-byte Folded Spill
	s_nop 0
	buffer_store_dword v12, off, s[20:23], 0 offset:84 ; 4-byte Folded Spill
	v_add_co_u32_e32 v6, vcc, s3, v6
	v_mul_f32_e32 v10, v9, v12
	v_fmac_f32_e32 v10, v8, v11
	v_mul_f32_e32 v8, v8, v12
	v_fma_f32 v11, v9, v11, -v8
	v_mov_b32_e32 v8, s2
	ds_write2_b64 v210, v[18:19], v[10:11] offset0:70 offset1:119
	v_addc_co_u32_e32 v7, vcc, v7, v8, vcc
	global_load_dwordx2 v[8:9], v[6:7], off
	global_load_dwordx2 v[11:12], v[27:28], off offset:1648
	s_waitcnt vmcnt(0)
	buffer_store_dword v11, off, s[20:23], 0 offset:56 ; 4-byte Folded Spill
	s_nop 0
	buffer_store_dword v12, off, s[20:23], 0 offset:60 ; 4-byte Folded Spill
	v_add_co_u32_e32 v200, vcc, s15, v113
	v_add_co_u32_e32 v6, vcc, s4, v6
	s_movk_i32 s15, 0x126
	v_mul_f32_e32 v10, v9, v12
	v_fmac_f32_e32 v10, v8, v11
	v_mul_f32_e32 v8, v8, v12
	v_fma_f32 v11, v9, v11, -v8
	v_mov_b32_e32 v8, s5
	ds_write2_b64 v208, v[20:21], v[10:11] offset0:157 offset1:206
	v_addc_co_u32_e32 v7, vcc, v7, v8, vcc
	global_load_dwordx2 v[8:9], v[6:7], off
	global_load_dwordx2 v[11:12], v66, s[8:9] offset:1960
	s_waitcnt vmcnt(0)
	buffer_store_dword v11, off, s[20:23], 0 offset:152 ; 4-byte Folded Spill
	s_nop 0
	buffer_store_dword v12, off, s[20:23], 0 offset:156 ; 4-byte Folded Spill
	v_add_co_u32_e32 v6, vcc, s3, v6
	v_mul_f32_e32 v10, v9, v12
	v_fmac_f32_e32 v10, v8, v11
	v_mul_f32_e32 v8, v8, v12
	v_fma_f32 v11, v9, v11, -v8
	v_mov_b32_e32 v8, s2
	ds_write2_b64 v66, v[22:23], v[10:11] offset0:196 offset1:245
	v_addc_co_u32_e32 v7, vcc, v7, v8, vcc
	global_load_dwordx2 v[8:9], v[6:7], off
	global_load_dwordx2 v[11:12], v[4:5], off offset:608
	s_waitcnt vmcnt(0)
	buffer_store_dword v11, off, s[20:23], 0 offset:120 ; 4-byte Folded Spill
	s_nop 0
	buffer_store_dword v12, off, s[20:23], 0 offset:124 ; 4-byte Folded Spill
	v_add_co_u32_e32 v6, vcc, s3, v6
	v_mul_f32_e32 v10, v9, v12
	v_fmac_f32_e32 v10, v8, v11
	v_mul_f32_e32 v8, v8, v12
	v_fma_f32 v11, v9, v11, -v8
	v_mov_b32_e32 v8, s2
	v_addc_co_u32_e32 v7, vcc, v7, v8, vcc
	global_load_dwordx2 v[8:9], v[6:7], off
	global_load_dwordx2 v[13:14], v[4:5], off offset:3352
	s_waitcnt vmcnt(0)
	buffer_store_dword v13, off, s[20:23], 0 offset:72 ; 4-byte Folded Spill
	s_nop 0
	buffer_store_dword v14, off, s[20:23], 0 offset:76 ; 4-byte Folded Spill
	v_add_co_u32_e32 v6, vcc, s3, v6
	v_mul_f32_e32 v12, v9, v14
	v_fmac_f32_e32 v12, v8, v13
	v_mul_f32_e32 v8, v8, v14
	v_fma_f32 v13, v9, v13, -v8
	v_mov_b32_e32 v8, s2
	v_addc_co_u32_e32 v7, vcc, v7, v8, vcc
	global_load_dwordx2 v[8:9], v[6:7], off
	global_load_dwordx2 v[15:16], v[2:3], off offset:2000
	s_waitcnt vmcnt(0)
	buffer_store_dword v15, off, s[20:23], 0 offset:48 ; 4-byte Folded Spill
	s_nop 0
	buffer_store_dword v16, off, s[20:23], 0 offset:52 ; 4-byte Folded Spill
	v_add_co_u32_e32 v6, vcc, s3, v6
	v_mul_f32_e32 v14, v9, v16
	v_fmac_f32_e32 v14, v8, v15
	v_mul_f32_e32 v8, v8, v16
	v_fma_f32 v15, v9, v15, -v8
	v_mov_b32_e32 v8, s2
	v_addc_co_u32_e32 v7, vcc, v7, v8, vcc
	global_load_dwordx2 v[8:9], v[6:7], off
	global_load_dwordx2 v[17:18], v[0:1], off offset:648
	s_waitcnt vmcnt(0)
	buffer_store_dword v17, off, s[20:23], 0 offset:24 ; 4-byte Folded Spill
	s_nop 0
	buffer_store_dword v18, off, s[20:23], 0 offset:28 ; 4-byte Folded Spill
	v_add_co_u32_e32 v6, vcc, s3, v6
	v_mul_f32_e32 v16, v9, v18
	v_fmac_f32_e32 v16, v8, v17
	v_mul_f32_e32 v8, v8, v18
	v_fma_f32 v17, v9, v17, -v8
	v_mov_b32_e32 v8, s2
	v_addc_co_u32_e32 v7, vcc, v7, v8, vcc
	global_load_dwordx2 v[18:19], v[6:7], off
	global_load_dwordx2 v[20:21], v[0:1], off offset:3392
	s_waitcnt vmcnt(0)
	buffer_store_dword v20, off, s[20:23], 0 offset:8 ; 4-byte Folded Spill
	s_nop 0
	buffer_store_dword v21, off, s[20:23], 0 offset:12 ; 4-byte Folded Spill
	v_mul_f32_e32 v8, v19, v21
	v_fmac_f32_e32 v8, v18, v20
	v_mul_f32_e32 v9, v18, v21
	v_add_co_u32_e32 v18, vcc, s3, v6
	v_mov_b32_e32 v6, s2
	v_fma_f32 v9, v19, v20, -v9
	v_addc_co_u32_e32 v19, vcc, v7, v6, vcc
	global_load_dwordx2 v[20:21], v[18:19], off
	global_load_dwordx2 v[22:23], v[27:28], off offset:2040
	s_nop 0
	buffer_store_dword v27, off, s[20:23], 0 offset:984 ; 4-byte Folded Spill
	s_nop 0
	buffer_store_dword v28, off, s[20:23], 0 offset:988 ; 4-byte Folded Spill
	s_waitcnt vmcnt(2)
	buffer_store_dword v22, off, s[20:23], 0 ; 4-byte Folded Spill
	s_nop 0
	buffer_store_dword v23, off, s[20:23], 0 offset:4 ; 4-byte Folded Spill
	v_add_co_u32_e32 v212, vcc, s15, v113
	v_add_co_u32_e32 v18, vcc, s4, v18
	s_mov_b32 s4, 0xbf3bfb3b
	v_mul_f32_e32 v6, v21, v23
	v_fmac_f32_e32 v6, v20, v22
	v_mul_f32_e32 v7, v20, v23
	v_mov_b32_e32 v20, s5
	v_addc_co_u32_e32 v19, vcc, v19, v20, vcc
	v_fma_f32 v7, v21, v22, -v7
	global_load_dwordx2 v[20:21], v[18:19], off
	global_load_dwordx2 v[23:24], v66, s[8:9] offset:2352
	s_waitcnt vmcnt(0)
	buffer_store_dword v23, off, s[20:23], 0 offset:40 ; 4-byte Folded Spill
	s_nop 0
	buffer_store_dword v24, off, s[20:23], 0 offset:44 ; 4-byte Folded Spill
	v_add_co_u32_e32 v18, vcc, s3, v18
	s_mov_b32 s5, 0x3f5ff5aa
	s_movk_i32 s8, 0x2493
	v_mul_f32_e32 v22, v21, v24
	v_fmac_f32_e32 v22, v20, v23
	v_mul_f32_e32 v20, v20, v24
	v_fma_f32 v23, v21, v23, -v20
	v_mov_b32_e32 v20, s2
	ds_write_b64 v66, v[22:23] offset:2352
	v_addc_co_u32_e32 v19, vcc, v19, v20, vcc
	global_load_dwordx2 v[20:21], v[18:19], off
	global_load_dwordx2 v[23:24], v[4:5], off offset:1000
	s_waitcnt vmcnt(0)
	buffer_store_dword v23, off, s[20:23], 0 offset:32 ; 4-byte Folded Spill
	s_nop 0
	buffer_store_dword v24, off, s[20:23], 0 offset:36 ; 4-byte Folded Spill
	v_mul_f32_e32 v22, v21, v24
	v_fmac_f32_e32 v22, v20, v23
	v_mul_f32_e32 v20, v20, v24
	v_fma_f32 v23, v21, v23, -v20
	v_add_u32_e32 v20, 0x1000, v66
	ds_write2_b64 v20, v[10:11], v[22:23] offset0:76 offset1:125
	v_add_co_u32_e32 v10, vcc, s3, v18
	v_mov_b32_e32 v11, s2
	v_addc_co_u32_e32 v11, vcc, v19, v11, vcc
	v_mov_b32_e32 v202, v20
	global_load_dwordx2 v[18:19], v[10:11], off
	global_load_dwordx2 v[20:21], v[4:5], off offset:3744
	s_waitcnt vmcnt(0)
	buffer_store_dword v20, off, s[20:23], 0 offset:16 ; 4-byte Folded Spill
	s_nop 0
	buffer_store_dword v21, off, s[20:23], 0 offset:20 ; 4-byte Folded Spill
	v_mul_f32_e32 v4, v19, v21
	v_mul_f32_e32 v5, v18, v21
	v_fmac_f32_e32 v4, v18, v20
	v_fma_f32 v5, v19, v20, -v5
	ds_write2_b64 v209, v[12:13], v[4:5] offset0:163 offset1:212
	v_add_co_u32_e32 v4, vcc, s3, v10
	v_mov_b32_e32 v5, s2
	v_addc_co_u32_e32 v5, vcc, v11, v5, vcc
	global_load_dwordx2 v[10:11], v[4:5], off
	global_load_dwordx2 v[12:13], v[2:3], off offset:2392
	s_waitcnt vmcnt(0)
	buffer_store_dword v12, off, s[20:23], 0 offset:96 ; 4-byte Folded Spill
	s_nop 0
	buffer_store_dword v13, off, s[20:23], 0 offset:100 ; 4-byte Folded Spill
	v_mul_f32_e32 v2, v11, v13
	v_mul_f32_e32 v3, v10, v13
	v_fmac_f32_e32 v2, v10, v12
	v_fma_f32 v3, v11, v12, -v3
	v_add_u32_e32 v10, 0x2400, v66
	ds_write2_b64 v10, v[14:15], v[2:3] offset0:122 offset1:171
	v_add_co_u32_e32 v2, vcc, s3, v4
	v_mov_b32_e32 v3, s2
	v_addc_co_u32_e32 v3, vcc, v5, v3, vcc
	global_load_dwordx2 v[4:5], v[2:3], off
	global_load_dwordx2 v[11:12], v[0:1], off offset:1040
	s_waitcnt vmcnt(0)
	buffer_store_dword v11, off, s[20:23], 0 offset:88 ; 4-byte Folded Spill
	s_nop 0
	buffer_store_dword v12, off, s[20:23], 0 offset:92 ; 4-byte Folded Spill
	v_mov_b32_e32 v20, v10
	v_add_co_u32_e32 v2, vcc, s3, v2
	v_mov_b32_e32 v116, v20
	v_mov_b32_e32 v204, v116
	v_mul_f32_e32 v10, v5, v12
	v_fmac_f32_e32 v10, v4, v11
	v_mul_f32_e32 v4, v4, v12
	v_fma_f32 v11, v5, v11, -v4
	v_add_u32_e32 v4, 0x3000, v66
	ds_write2_b64 v4, v[16:17], v[10:11] offset0:81 offset1:130
	v_mov_b32_e32 v211, v4
	v_mov_b32_e32 v4, s2
	v_addc_co_u32_e32 v3, vcc, v3, v4, vcc
	global_load_dwordx2 v[4:5], v[2:3], off
	global_load_dwordx2 v[10:11], v[0:1], off offset:3784
	s_waitcnt vmcnt(0)
	buffer_store_dword v10, off, s[20:23], 0 offset:296 ; 4-byte Folded Spill
	s_nop 0
	buffer_store_dword v11, off, s[20:23], 0 offset:300 ; 4-byte Folded Spill
	v_mul_f32_e32 v0, v5, v11
	v_mul_f32_e32 v1, v4, v11
	v_fmac_f32_e32 v0, v4, v10
	v_fma_f32 v1, v5, v10, -v1
	ds_write2_b64 v210, v[8:9], v[0:1] offset0:168 offset1:217
	v_add_co_u32_e32 v0, vcc, s3, v2
	v_mov_b32_e32 v1, s2
	v_addc_co_u32_e32 v1, vcc, v3, v1, vcc
	global_load_dwordx2 v[0:1], v[0:1], off
	s_nop 0
	global_load_dwordx2 v[2:3], v[27:28], off offset:2432
	v_add_u32_e32 v8, 0x1c00, v66
	v_mov_b32_e32 v114, v8
	s_mov_b32 s3, 0x3f3bfb3b
	v_mov_b32_e32 v203, v114
	s_mov_b32 s2, 0xbf5ff5aa
	s_waitcnt vmcnt(0)
	v_mov_b32_e32 v4, v3
	v_mov_b32_e32 v3, v2
	v_mul_f32_e32 v2, v1, v4
	v_fmac_f32_e32 v2, v0, v3
	v_mul_f32_e32 v0, v0, v4
	buffer_store_dword v3, off, s[20:23], 0 offset:384 ; 4-byte Folded Spill
	s_nop 0
	buffer_store_dword v4, off, s[20:23], 0 offset:388 ; 4-byte Folded Spill
	v_fma_f32 v3, v1, v3, -v0
	v_add_u32_e32 v0, 0x4400, v66
	ds_write2_b64 v0, v[6:7], v[2:3] offset0:127 offset1:176
	s_waitcnt lgkmcnt(0)
	; wave barrier
	s_waitcnt lgkmcnt(0)
	ds_read2_b64 v[48:51], v66 offset1:49
	ds_read2_b64 v[0:3], v201 offset0:38 offset1:87
	ds_read2_b64 v[52:55], v202 offset0:174 offset1:223
	;; [unrolled: 1-line block ×22, first 2 shown]
	s_waitcnt lgkmcnt(14)
	v_add_f32_e32 v42, v2, v60
	v_add_f32_e32 v44, v52, v10
	;; [unrolled: 1-line block ×4, first 2 shown]
	v_sub_f32_e32 v10, v52, v10
	v_add_f32_e32 v46, v6, v56
	v_sub_f32_e32 v6, v56, v6
	v_add_f32_e32 v52, v44, v42
	v_sub_f32_e32 v2, v2, v60
	v_sub_f32_e32 v11, v53, v11
	v_add_f32_e32 v47, v7, v57
	v_sub_f32_e32 v7, v57, v7
	v_add_f32_e32 v53, v45, v43
	v_sub_f32_e32 v56, v44, v42
	v_sub_f32_e32 v42, v42, v46
	;; [unrolled: 1-line block ×3, first 2 shown]
	v_add_f32_e32 v60, v6, v10
	v_add_f32_e32 v46, v46, v52
	v_sub_f32_e32 v3, v3, v61
	v_sub_f32_e32 v57, v45, v43
	;; [unrolled: 1-line block ×4, first 2 shown]
	v_add_f32_e32 v61, v7, v11
	v_sub_f32_e32 v64, v6, v10
	v_sub_f32_e32 v6, v2, v6
	;; [unrolled: 1-line block ×3, first 2 shown]
	v_add_f32_e32 v47, v47, v53
	v_add_f32_e32 v52, v60, v2
	;; [unrolled: 1-line block ×3, first 2 shown]
	v_sub_f32_e32 v65, v7, v11
	v_sub_f32_e32 v7, v3, v7
	;; [unrolled: 1-line block ×3, first 2 shown]
	v_add_f32_e32 v53, v61, v3
	v_add_f32_e32 v3, v47, v49
	v_mov_b32_e32 v75, v2
	v_mul_f32_e32 v42, 0x3f4a47b2, v42
	v_mul_f32_e32 v43, 0x3f4a47b2, v43
	;; [unrolled: 1-line block ×5, first 2 shown]
	v_fmac_f32_e32 v75, 0xbf955555, v46
	v_mov_b32_e32 v46, v3
	v_mul_f32_e32 v61, 0xbf08b237, v65
	v_mul_f32_e32 v64, 0xbf5ff5aa, v10
	;; [unrolled: 1-line block ×3, first 2 shown]
	v_fmac_f32_e32 v46, 0xbf955555, v47
	v_fma_f32 v47, v56, s3, -v48
	v_fma_f32 v48, v57, s3, -v49
	;; [unrolled: 1-line block ×3, first 2 shown]
	v_fmac_f32_e32 v42, 0x3d64c772, v44
	v_fma_f32 v44, v57, s4, -v43
	v_fmac_f32_e32 v43, 0x3d64c772, v45
	v_fma_f32 v45, v10, s5, -v60
	v_fmac_f32_e32 v60, 0x3eae86e6, v6
	v_fma_f32 v56, v11, s5, -v61
	v_fmac_f32_e32 v61, 0x3eae86e6, v7
	v_fmac_f32_e32 v64, 0xbeae86e6, v6
	;; [unrolled: 1-line block ×3, first 2 shown]
	v_add_f32_e32 v76, v43, v46
	v_add_f32_e32 v7, v48, v46
	v_fmac_f32_e32 v60, 0x3ee1c552, v52
	v_fmac_f32_e32 v45, 0x3ee1c552, v52
	v_add_f32_e32 v57, v42, v75
	v_add_f32_e32 v6, v47, v75
	;; [unrolled: 1-line block ×3, first 2 shown]
	v_fmac_f32_e32 v61, 0x3ee1c552, v53
	v_fmac_f32_e32 v56, 0x3ee1c552, v53
	;; [unrolled: 1-line block ×3, first 2 shown]
	v_sub_f32_e32 v43, v76, v60
	v_add_f32_e32 v11, v45, v7
	v_sub_f32_e32 v47, v7, v45
	v_add_f32_e32 v45, v60, v76
	v_add_f32_e32 v52, v67, v62
	s_waitcnt lgkmcnt(13)
	v_add_f32_e32 v60, v54, v80
	v_add_f32_e32 v75, v49, v75
	v_fmac_f32_e32 v65, 0x3ee1c552, v53
	v_add_f32_e32 v42, v57, v61
	v_sub_f32_e32 v49, v44, v64
	v_sub_f32_e32 v10, v6, v56
	v_add_f32_e32 v46, v56, v6
	v_add_f32_e32 v7, v64, v44
	v_sub_f32_e32 v44, v57, v61
	v_add_f32_e32 v53, v68, v63
	v_sub_f32_e32 v56, v67, v62
	v_add_f32_e32 v61, v55, v81
	v_add_f32_e32 v62, v71, v58
	;; [unrolled: 1-line block ×4, first 2 shown]
	v_sub_f32_e32 v6, v75, v65
	v_sub_f32_e32 v57, v68, v63
	v_add_f32_e32 v63, v72, v59
	v_add_f32_e32 v65, v61, v53
	v_sub_f32_e32 v67, v60, v52
	v_sub_f32_e32 v52, v52, v62
	;; [unrolled: 1-line block ×3, first 2 shown]
	v_add_f32_e32 v62, v62, v64
	v_sub_f32_e32 v55, v55, v81
	v_sub_f32_e32 v59, v59, v72
	v_sub_f32_e32 v68, v61, v53
	v_sub_f32_e32 v53, v53, v63
	v_sub_f32_e32 v61, v63, v61
	v_add_f32_e32 v63, v63, v65
	v_add_f32_e32 v50, v62, v50
	v_sub_f32_e32 v54, v54, v80
	v_sub_f32_e32 v58, v58, v71
	v_add_f32_e32 v72, v59, v55
	v_sub_f32_e32 v76, v59, v55
	v_sub_f32_e32 v55, v55, v57
	v_add_f32_e32 v51, v63, v51
	v_mov_b32_e32 v77, v50
	v_add_f32_e32 v71, v58, v54
	v_sub_f32_e32 v75, v58, v54
	v_sub_f32_e32 v59, v57, v59
	;; [unrolled: 1-line block ×3, first 2 shown]
	v_add_f32_e32 v57, v72, v57
	v_mul_f32_e32 v52, 0x3f4a47b2, v52
	v_mul_f32_e32 v53, 0x3f4a47b2, v53
	v_mul_f32_e32 v64, 0x3d64c772, v60
	v_mul_f32_e32 v65, 0x3d64c772, v61
	v_mul_f32_e32 v72, 0xbf08b237, v76
	v_mul_f32_e32 v76, 0xbf5ff5aa, v55
	v_fmac_f32_e32 v77, 0xbf955555, v62
	v_mov_b32_e32 v62, v51
	v_sub_f32_e32 v58, v56, v58
	v_add_f32_e32 v56, v71, v56
	v_mul_f32_e32 v71, 0xbf08b237, v75
	v_mul_f32_e32 v75, 0xbf5ff5aa, v54
	v_fmac_f32_e32 v62, 0xbf955555, v63
	v_fma_f32 v63, v67, s3, -v64
	v_fma_f32 v64, v68, s3, -v65
	;; [unrolled: 1-line block ×3, first 2 shown]
	v_fmac_f32_e32 v52, 0x3d64c772, v60
	v_fma_f32 v60, v68, s4, -v53
	v_fmac_f32_e32 v53, 0x3d64c772, v61
	v_fma_f32 v67, v55, s5, -v72
	;; [unrolled: 2-line block ×3, first 2 shown]
	v_fmac_f32_e32 v71, 0x3eae86e6, v58
	v_fmac_f32_e32 v72, 0x3eae86e6, v59
	;; [unrolled: 1-line block ×3, first 2 shown]
	v_add_f32_e32 v58, v52, v77
	v_add_f32_e32 v59, v53, v62
	;; [unrolled: 1-line block ×5, first 2 shown]
	v_fmac_f32_e32 v67, 0x3ee1c552, v57
	v_fmac_f32_e32 v76, 0x3ee1c552, v57
	v_add_f32_e32 v65, v60, v62
	v_fmac_f32_e32 v71, 0x3ee1c552, v56
	v_fmac_f32_e32 v61, 0x3ee1c552, v56
	v_fmac_f32_e32 v75, 0x3ee1c552, v56
	v_add_f32_e32 v62, v76, v64
	v_sub_f32_e32 v54, v52, v67
	v_add_f32_e32 v60, v67, v52
	v_sub_f32_e32 v52, v64, v76
	s_waitcnt lgkmcnt(9)
	v_add_f32_e32 v64, v69, v97
	v_sub_f32_e32 v67, v69, v97
	v_add_f32_e32 v69, v89, v82
	v_fmac_f32_e32 v72, 0x3ee1c552, v57
	v_sub_f32_e32 v57, v59, v71
	v_sub_f32_e32 v63, v65, v75
	v_add_f32_e32 v55, v61, v53
	v_sub_f32_e32 v61, v53, v61
	v_add_f32_e32 v53, v75, v65
	v_add_f32_e32 v59, v71, v59
	;; [unrolled: 1-line block ×3, first 2 shown]
	v_sub_f32_e32 v68, v70, v98
	v_add_f32_e32 v70, v90, v83
	v_sub_f32_e32 v71, v89, v82
	v_add_f32_e32 v75, v73, v93
	;; [unrolled: 2-line block ×3, first 2 shown]
	v_add_f32_e32 v56, v58, v72
	v_sub_f32_e32 v58, v58, v72
	v_sub_f32_e32 v72, v90, v83
	v_add_f32_e32 v76, v74, v94
	v_sub_f32_e32 v74, v94, v74
	v_add_f32_e32 v80, v70, v65
	v_sub_f32_e32 v81, v69, v64
	v_sub_f32_e32 v83, v64, v75
	;; [unrolled: 1-line block ×3, first 2 shown]
	v_add_f32_e32 v64, v73, v71
	v_add_f32_e32 v75, v75, v77
	v_sub_f32_e32 v82, v70, v65
	v_sub_f32_e32 v89, v65, v76
	v_sub_f32_e32 v70, v76, v70
	v_add_f32_e32 v65, v74, v72
	v_sub_f32_e32 v90, v73, v71
	v_sub_f32_e32 v73, v67, v73
	;; [unrolled: 1-line block ×3, first 2 shown]
	v_add_f32_e32 v76, v76, v80
	v_add_f32_e32 v67, v64, v67
	;; [unrolled: 1-line block ×3, first 2 shown]
	v_sub_f32_e32 v93, v74, v72
	v_sub_f32_e32 v74, v68, v74
	;; [unrolled: 1-line block ×3, first 2 shown]
	v_add_f32_e32 v68, v65, v68
	v_add_f32_e32 v65, v76, v85
	v_mov_b32_e32 v94, v64
	v_mul_f32_e32 v77, 0x3f4a47b2, v83
	v_mul_f32_e32 v80, 0x3f4a47b2, v89
	;; [unrolled: 1-line block ×8, first 2 shown]
	v_fmac_f32_e32 v94, 0xbf955555, v75
	v_mov_b32_e32 v75, v65
	v_fmac_f32_e32 v75, 0xbf955555, v76
	v_fma_f32 v76, v81, s3, -v83
	v_fma_f32 v83, v82, s3, -v84
	;; [unrolled: 1-line block ×3, first 2 shown]
	v_fmac_f32_e32 v77, 0x3d64c772, v69
	v_fma_f32 v69, v82, s4, -v80
	v_fmac_f32_e32 v80, 0x3d64c772, v70
	v_fma_f32 v82, v71, s5, -v85
	;; [unrolled: 2-line block ×3, first 2 shown]
	v_fmac_f32_e32 v89, 0x3eae86e6, v74
	v_fmac_f32_e32 v90, 0xbeae86e6, v73
	;; [unrolled: 1-line block ×3, first 2 shown]
	v_add_f32_e32 v77, v77, v94
	v_add_f32_e32 v97, v80, v75
	;; [unrolled: 1-line block ×5, first 2 shown]
	v_fmac_f32_e32 v85, 0x3ee1c552, v67
	v_fmac_f32_e32 v89, 0x3ee1c552, v68
	;; [unrolled: 1-line block ×4, first 2 shown]
	v_add_f32_e32 v74, v83, v75
	v_fmac_f32_e32 v82, 0x3ee1c552, v67
	v_fmac_f32_e32 v84, 0x3ee1c552, v68
	v_add_f32_e32 v67, v77, v89
	v_sub_f32_e32 v68, v97, v85
	v_add_f32_e32 v69, v93, v76
	v_sub_f32_e32 v70, v80, v90
	v_sub_f32_e32 v75, v76, v93
	v_add_f32_e32 v76, v90, v80
	v_sub_f32_e32 v80, v77, v89
	v_add_f32_e32 v81, v85, v97
	s_waitcnt lgkmcnt(8)
	v_add_f32_e32 v77, v101, v99
	s_waitcnt lgkmcnt(6)
	v_add_f32_e32 v85, v91, v109
	v_add_f32_e32 v72, v82, v74
	v_sub_f32_e32 v74, v74, v82
	v_add_f32_e32 v82, v102, v100
	v_add_f32_e32 v89, v92, v110
	v_sub_f32_e32 v90, v91, v109
	v_sub_f32_e32 v91, v92, v110
	v_add_f32_e32 v92, v105, v95
	v_add_f32_e32 v93, v106, v96
	v_sub_f32_e32 v94, v95, v105
	v_sub_f32_e32 v95, v96, v106
	v_add_f32_e32 v96, v85, v77
	v_sub_f32_e32 v71, v73, v84
	v_add_f32_e32 v73, v84, v73
	v_sub_f32_e32 v83, v101, v99
	v_sub_f32_e32 v84, v102, v100
	v_add_f32_e32 v97, v89, v82
	v_sub_f32_e32 v98, v85, v77
	v_sub_f32_e32 v99, v89, v82
	;; [unrolled: 1-line block ×5, first 2 shown]
	v_add_f32_e32 v82, v94, v90
	v_add_f32_e32 v92, v92, v96
	v_sub_f32_e32 v89, v93, v89
	v_add_f32_e32 v93, v93, v97
	v_add_f32_e32 v96, v82, v83
	;; [unrolled: 1-line block ×4, first 2 shown]
	v_sub_f32_e32 v102, v94, v90
	v_sub_f32_e32 v105, v95, v91
	;; [unrolled: 1-line block ×5, first 2 shown]
	v_add_f32_e32 v83, v93, v87
	v_mov_b32_e32 v106, v82
	v_sub_f32_e32 v95, v84, v95
	v_add_f32_e32 v84, v101, v84
	v_mul_f32_e32 v77, 0x3f4a47b2, v77
	v_mul_f32_e32 v86, 0x3f4a47b2, v100
	;; [unrolled: 1-line block ×7, first 2 shown]
	v_fmac_f32_e32 v106, 0xbf955555, v92
	v_mov_b32_e32 v92, v83
	v_mul_f32_e32 v102, 0xbf5ff5aa, v90
	v_fmac_f32_e32 v92, 0xbf955555, v93
	v_fma_f32 v87, v98, s3, -v87
	v_fma_f32 v93, v99, s3, -v97
	;; [unrolled: 1-line block ×3, first 2 shown]
	v_fmac_f32_e32 v77, 0x3d64c772, v85
	v_fma_f32 v98, v90, s5, -v100
	v_fma_f32 v91, v91, s5, -v101
	v_fmac_f32_e32 v101, 0x3eae86e6, v95
	v_fmac_f32_e32 v105, 0xbeae86e6, v95
	v_fma_f32 v85, v99, s4, -v86
	v_fmac_f32_e32 v86, 0x3d64c772, v89
	v_fmac_f32_e32 v100, 0x3eae86e6, v94
	v_fmac_f32_e32 v102, 0xbeae86e6, v94
	v_add_f32_e32 v77, v77, v106
	v_add_f32_e32 v93, v93, v92
	v_add_f32_e32 v95, v97, v106
	v_fmac_f32_e32 v101, 0x3ee1c552, v84
	v_fmac_f32_e32 v98, 0x3ee1c552, v96
	v_fmac_f32_e32 v105, 0x3ee1c552, v84
	v_add_f32_e32 v99, v86, v92
	v_add_f32_e32 v94, v87, v106
	v_add_f32_e32 v97, v85, v92
	;; [unrolled: 6-line block ×3, first 2 shown]
	v_sub_f32_e32 v92, v93, v98
	v_sub_f32_e32 v93, v95, v105
	;; [unrolled: 1-line block ×3, first 2 shown]
	s_waitcnt lgkmcnt(2)
	v_add_f32_e32 v77, v103, v36
	v_add_f32_e32 v98, v32, v111
	v_sub_f32_e32 v85, v99, v100
	v_sub_f32_e32 v87, v97, v102
	v_sub_f32_e32 v89, v94, v91
	v_add_f32_e32 v91, v91, v94
	v_add_f32_e32 v94, v102, v97
	;; [unrolled: 1-line block ×7, first 2 shown]
	v_sub_f32_e32 v36, v103, v36
	v_sub_f32_e32 v37, v104, v37
	v_add_f32_e32 v101, v108, v29
	v_add_f32_e32 v103, v99, v97
	v_sub_f32_e32 v104, v98, v77
	v_sub_f32_e32 v77, v77, v100
	;; [unrolled: 1-line block ×3, first 2 shown]
	v_add_f32_e32 v100, v100, v102
	v_sub_f32_e32 v32, v32, v111
	v_sub_f32_e32 v33, v33, v112
	;; [unrolled: 1-line block ×7, first 2 shown]
	v_add_f32_e32 v101, v101, v103
	v_add_f32_e32 v24, v100, v24
	ds_read2_b64 v[20:23], v210 offset0:168 offset1:217
	ds_read_b64 v[40:41], v66 offset:18816
	v_add_f32_e32 v106, v28, v32
	v_add_f32_e32 v107, v29, v33
	v_sub_f32_e32 v108, v28, v32
	v_sub_f32_e32 v109, v29, v33
	v_add_f32_e32 v25, v101, v25
	v_mov_b32_e32 v110, v24
	v_sub_f32_e32 v28, v36, v28
	v_sub_f32_e32 v29, v37, v29
	;; [unrolled: 1-line block ×4, first 2 shown]
	v_add_f32_e32 v36, v106, v36
	v_add_f32_e32 v37, v107, v37
	v_mul_f32_e32 v77, 0x3f4a47b2, v77
	v_mul_f32_e32 v97, 0x3f4a47b2, v97
	;; [unrolled: 1-line block ×6, first 2 shown]
	v_fmac_f32_e32 v110, 0xbf955555, v100
	v_mov_b32_e32 v100, v25
	v_mul_f32_e32 v109, 0xbf5ff5aa, v33
	v_fmac_f32_e32 v100, 0xbf955555, v101
	v_fma_f32 v101, v104, s3, -v102
	v_fma_f32 v102, v105, s3, -v103
	;; [unrolled: 1-line block ×3, first 2 shown]
	v_fmac_f32_e32 v77, 0x3d64c772, v98
	v_fma_f32 v98, v105, s4, -v97
	v_fmac_f32_e32 v97, 0x3d64c772, v99
	v_fma_f32 v99, v32, s5, -v106
	v_fma_f32 v104, v33, s5, -v107
	v_fmac_f32_e32 v107, 0x3eae86e6, v29
	v_mul_f32_e32 v108, 0xbf5ff5aa, v32
	v_fmac_f32_e32 v109, 0xbeae86e6, v29
	v_add_f32_e32 v77, v77, v110
	v_add_f32_e32 v105, v97, v100
	;; [unrolled: 1-line block ×4, first 2 shown]
	v_fmac_f32_e32 v107, 0x3ee1c552, v37
	v_fmac_f32_e32 v99, 0x3ee1c552, v36
	;; [unrolled: 1-line block ×4, first 2 shown]
	v_add_f32_e32 v100, v98, v100
	v_fmac_f32_e32 v104, 0x3ee1c552, v37
	v_fmac_f32_e32 v109, 0x3ee1c552, v37
	v_add_f32_e32 v28, v77, v107
	v_add_f32_e32 v37, v99, v101
	v_sub_f32_e32 v98, v101, v99
	v_sub_f32_e32 v101, v77, v107
	s_waitcnt lgkmcnt(3)
	v_add_f32_e32 v77, v16, v38
	v_sub_f32_e32 v16, v16, v38
	s_waitcnt lgkmcnt(1)
	v_add_f32_e32 v38, v34, v20
	v_add_f32_e32 v102, v103, v110
	;; [unrolled: 1-line block ×3, first 2 shown]
	v_sub_f32_e32 v17, v17, v39
	v_add_f32_e32 v39, v35, v21
	v_sub_f32_e32 v20, v34, v20
	v_add_f32_e32 v34, v12, v30
	;; [unrolled: 2-line block ×3, first 2 shown]
	v_fmac_f32_e32 v106, 0x3ee1c552, v36
	v_fmac_f32_e32 v108, 0x3ee1c552, v36
	v_sub_f32_e32 v21, v35, v21
	v_add_f32_e32 v35, v13, v31
	v_sub_f32_e32 v13, v31, v13
	v_add_f32_e32 v31, v39, v103
	v_add_f32_e32 v30, v34, v30
	v_sub_f32_e32 v29, v105, v106
	v_add_f32_e32 v32, v109, v102
	v_sub_f32_e32 v33, v100, v108
	v_sub_f32_e32 v36, v97, v104
	v_add_f32_e32 v97, v104, v97
	v_sub_f32_e32 v99, v102, v109
	v_add_f32_e32 v100, v108, v100
	v_add_f32_e32 v102, v106, v105
	v_sub_f32_e32 v104, v38, v77
	v_sub_f32_e32 v77, v77, v34
	v_add_f32_e32 v106, v12, v20
	v_sub_f32_e32 v108, v12, v20
	v_sub_f32_e32 v110, v16, v12
	v_add_f32_e32 v31, v35, v31
	v_add_f32_e32 v12, v30, v26
	v_sub_f32_e32 v105, v39, v103
	v_sub_f32_e32 v103, v103, v35
	;; [unrolled: 1-line block ×4, first 2 shown]
	v_add_f32_e32 v107, v13, v21
	v_sub_f32_e32 v109, v13, v21
	v_sub_f32_e32 v111, v17, v13
	v_add_f32_e32 v13, v31, v27
	v_mul_f32_e32 v26, 0x3f4a47b2, v77
	v_mul_f32_e32 v77, 0xbf08b237, v108
	v_mov_b32_e32 v108, v12
	v_sub_f32_e32 v20, v20, v16
	v_sub_f32_e32 v21, v21, v17
	v_mul_f32_e32 v27, 0x3f4a47b2, v103
	v_mul_f32_e32 v34, 0x3d64c772, v38
	v_mul_f32_e32 v35, 0x3d64c772, v39
	v_mul_f32_e32 v103, 0xbf08b237, v109
	v_fmac_f32_e32 v108, 0xbf955555, v30
	v_mov_b32_e32 v30, v13
	v_add_f32_e32 v16, v106, v16
	v_add_f32_e32 v17, v107, v17
	v_mul_f32_e32 v106, 0xbf5ff5aa, v20
	v_mul_f32_e32 v107, 0xbf5ff5aa, v21
	v_fmac_f32_e32 v30, 0xbf955555, v31
	v_fma_f32 v31, v104, s3, -v34
	v_fma_f32 v34, v105, s3, -v35
	;; [unrolled: 1-line block ×3, first 2 shown]
	v_fmac_f32_e32 v26, 0x3d64c772, v38
	v_fma_f32 v38, v105, s4, -v27
	v_fmac_f32_e32 v27, 0x3d64c772, v39
	v_fma_f32 v39, v20, s5, -v77
	v_fmac_f32_e32 v77, 0x3eae86e6, v110
	v_fma_f32 v104, v21, s5, -v103
	v_fmac_f32_e32 v103, 0x3eae86e6, v111
	v_fmac_f32_e32 v106, 0xbeae86e6, v110
	;; [unrolled: 1-line block ×3, first 2 shown]
	v_add_f32_e32 v109, v27, v30
	v_add_f32_e32 v31, v31, v108
	;; [unrolled: 1-line block ×3, first 2 shown]
	v_fmac_f32_e32 v77, 0x3ee1c552, v16
	v_fmac_f32_e32 v39, 0x3ee1c552, v16
	;; [unrolled: 1-line block ×3, first 2 shown]
	v_add_f32_e32 v105, v26, v108
	v_add_f32_e32 v35, v35, v108
	v_add_f32_e32 v38, v38, v30
	v_fmac_f32_e32 v103, 0x3ee1c552, v17
	v_fmac_f32_e32 v106, 0x3ee1c552, v16
	;; [unrolled: 1-line block ×3, first 2 shown]
	v_sub_f32_e32 v17, v109, v77
	v_sub_f32_e32 v26, v31, v104
	v_add_f32_e32 v27, v39, v34
	v_add_f32_e32 v30, v104, v31
	v_sub_f32_e32 v31, v34, v39
	v_add_f32_e32 v39, v77, v109
	s_waitcnt lgkmcnt(0)
	v_add_f32_e32 v77, v18, v40
	v_sub_f32_e32 v18, v18, v40
	v_add_f32_e32 v40, v4, v22
	v_add_f32_e32 v16, v105, v103
	;; [unrolled: 1-line block ×3, first 2 shown]
	v_sub_f32_e32 v21, v38, v106
	v_sub_f32_e32 v34, v35, v107
	v_add_f32_e32 v35, v106, v38
	v_sub_f32_e32 v38, v105, v103
	v_add_f32_e32 v103, v19, v41
	;; [unrolled: 2-line block ×7, first 2 shown]
	v_add_f32_e32 v14, v22, v14
	v_add_f32_e32 v15, v23, v15
	;; [unrolled: 1-line block ×3, first 2 shown]
	v_sub_f32_e32 v104, v40, v77
	v_sub_f32_e32 v105, v41, v103
	;; [unrolled: 1-line block ×6, first 2 shown]
	v_add_f32_e32 v107, v9, v5
	v_sub_f32_e32 v109, v9, v5
	v_sub_f32_e32 v5, v5, v19
	v_add_f32_e32 v1, v15, v1
	v_mov_b32_e32 v110, v0
	v_add_f32_e32 v106, v8, v4
	v_sub_f32_e32 v108, v8, v4
	v_sub_f32_e32 v9, v19, v9
	v_sub_f32_e32 v4, v4, v18
	v_add_f32_e32 v19, v107, v19
	v_mul_f32_e32 v22, 0x3f4a47b2, v77
	v_mul_f32_e32 v23, 0x3f4a47b2, v103
	v_mul_f32_e32 v77, 0x3d64c772, v40
	v_mul_f32_e32 v103, 0x3d64c772, v41
	v_mul_f32_e32 v107, 0xbf08b237, v109
	v_mul_f32_e32 v109, 0xbf5ff5aa, v5
	v_fmac_f32_e32 v110, 0xbf955555, v14
	v_mov_b32_e32 v14, v1
	v_sub_f32_e32 v8, v18, v8
	v_add_f32_e32 v18, v106, v18
	v_mul_f32_e32 v106, 0xbf08b237, v108
	v_mul_f32_e32 v108, 0xbf5ff5aa, v4
	v_fmac_f32_e32 v14, 0xbf955555, v15
	v_fma_f32 v15, v104, s3, -v77
	v_fma_f32 v77, v105, s3, -v103
	;; [unrolled: 1-line block ×3, first 2 shown]
	v_fmac_f32_e32 v22, 0x3d64c772, v40
	v_fma_f32 v40, v105, s4, -v23
	v_fmac_f32_e32 v23, 0x3d64c772, v41
	v_fma_f32 v104, v5, s5, -v107
	;; [unrolled: 2-line block ×3, first 2 shown]
	v_fmac_f32_e32 v106, 0x3eae86e6, v8
	v_fmac_f32_e32 v108, 0xbeae86e6, v8
	v_add_f32_e32 v105, v22, v110
	v_add_f32_e32 v111, v23, v14
	v_add_f32_e32 v22, v15, v110
	v_add_f32_e32 v23, v77, v14
	v_add_f32_e32 v77, v103, v110
	v_fmac_f32_e32 v104, 0x3ee1c552, v19
	v_fmac_f32_e32 v109, 0x3ee1c552, v19
	v_add_f32_e32 v40, v40, v14
	v_fmac_f32_e32 v106, 0x3ee1c552, v18
	v_fmac_f32_e32 v41, 0x3ee1c552, v18
	;; [unrolled: 1-line block ×3, first 2 shown]
	v_add_f32_e32 v8, v109, v77
	v_sub_f32_e32 v14, v22, v104
	v_add_f32_e32 v18, v104, v22
	v_sub_f32_e32 v22, v77, v109
	v_mul_lo_u16_e32 v77, 7, v113
	v_lshlrev_b32_e32 v77, 3, v77
	s_waitcnt lgkmcnt(0)
	; wave barrier
	buffer_store_dword v77, off, s[20:23], 0 offset:972 ; 4-byte Folded Spill
	ds_write_b64 v77, v[2:3]
	ds_write2_b64 v77, v[42:43], v[48:49] offset0:1 offset1:2
	ds_write2_b64 v77, v[10:11], v[46:47] offset0:3 offset1:4
	;; [unrolled: 1-line block ×3, first 2 shown]
	v_mul_u32_u24_e32 v2, 7, v119
	v_lshlrev_b32_e32 v2, 3, v2
	v_fmac_f32_e32 v107, 0x3eae86e6, v9
	buffer_store_dword v2, off, s[20:23], 0 offset:968 ; 4-byte Folded Spill
	ds_write_b64 v2, v[50:51]
	ds_write2_b64 v2, v[56:57], v[62:63] offset0:1 offset1:2
	ds_write2_b64 v2, v[54:55], v[60:61] offset0:3 offset1:4
	;; [unrolled: 1-line block ×3, first 2 shown]
	v_mul_u32_u24_e32 v2, 7, v78
	v_fmac_f32_e32 v107, 0x3ee1c552, v19
	v_sub_f32_e32 v5, v111, v106
	v_add_f32_e32 v15, v41, v23
	v_sub_f32_e32 v19, v23, v41
	v_add_f32_e32 v41, v106, v111
	v_lshlrev_b32_e32 v2, 3, v2
	v_mov_b32_e32 v106, 37
	buffer_store_dword v2, off, s[20:23], 0 offset:964 ; 4-byte Folded Spill
	ds_write_b64 v2, v[64:65]
	ds_write2_b64 v2, v[67:68], v[69:70] offset0:1 offset1:2
	ds_write2_b64 v2, v[71:72], v[73:74] offset0:3 offset1:4
	;; [unrolled: 1-line block ×3, first 2 shown]
	v_mul_lo_u16_sdwa v67, v113, v106 dst_sel:DWORD dst_unused:UNUSED_PAD src0_sel:BYTE_0 src1_sel:DWORD
	v_sub_u16_sdwa v76, v113, v67 dst_sel:DWORD dst_unused:UNUSED_PAD src0_sel:DWORD src1_sel:BYTE_1
	v_mul_u32_u24_e32 v2, 7, v79
	v_lshrrev_b16_e32 v76, 1, v76
	v_lshlrev_b32_e32 v2, 3, v2
	v_and_b32_e32 v76, 0x7f, v76
	buffer_store_dword v2, off, s[20:23], 0 offset:944 ; 4-byte Folded Spill
	ds_write_b64 v2, v[82:83]
	ds_write2_b64 v2, v[84:85], v[86:87] offset0:1 offset1:2
	ds_write2_b64 v2, v[89:90], v[91:92] offset0:3 offset1:4
	;; [unrolled: 1-line block ×3, first 2 shown]
	v_mul_u32_u24_e32 v2, 7, v88
	v_add_u16_sdwa v67, v76, v67 dst_sel:DWORD dst_unused:UNUSED_PAD src0_sel:DWORD src1_sel:BYTE_1
	v_lshlrev_b32_e32 v2, 3, v2
	v_lshrrev_b16_e32 v127, 2, v67
	buffer_store_dword v2, off, s[20:23], 0 offset:940 ; 4-byte Folded Spill
	ds_write_b64 v2, v[24:25]
	ds_write2_b64 v2, v[28:29], v[32:33] offset0:1 offset1:2
	ds_write2_b64 v2, v[36:37], v[97:98] offset0:3 offset1:4
	;; [unrolled: 1-line block ×3, first 2 shown]
	v_mul_u32_u24_e32 v2, 7, v200
	v_mul_lo_u16_e32 v67, 7, v127
	v_lshlrev_b32_e32 v2, 3, v2
	v_sub_u16_e32 v67, v113, v67
	buffer_store_dword v2, off, s[20:23], 0 offset:936 ; 4-byte Folded Spill
	ds_write_b64 v2, v[12:13]
	ds_write2_b64 v2, v[16:17], v[20:21] offset0:1 offset1:2
	ds_write2_b64 v2, v[26:27], v[30:31] offset0:3 offset1:4
	;; [unrolled: 1-line block ×3, first 2 shown]
	v_mul_u32_u24_e32 v2, 7, v212
	v_and_b32_e32 v132, 0xff, v67
	v_add_f32_e32 v4, v105, v107
	v_sub_f32_e32 v9, v40, v108
	v_add_f32_e32 v23, v108, v40
	v_sub_f32_e32 v40, v105, v107
	v_lshlrev_b32_e32 v2, 3, v2
	v_mul_u32_u24_e32 v67, 6, v132
	buffer_store_dword v2, off, s[20:23], 0 offset:864 ; 4-byte Folded Spill
	ds_write_b64 v2, v[0:1]
	ds_write2_b64 v2, v[4:5], v[8:9] offset0:1 offset1:2
	ds_write2_b64 v2, v[14:15], v[18:19] offset0:3 offset1:4
	;; [unrolled: 1-line block ×3, first 2 shown]
	s_waitcnt lgkmcnt(0)
	; wave barrier
	s_waitcnt lgkmcnt(0)
	ds_read2_b64 v[12:15], v66 offset1:49
	ds_read2_b64 v[0:3], v201 offset0:38 offset1:87
	ds_read2_b64 v[62:65], v202 offset0:174 offset1:223
	ds_read2_b64 v[24:27], v114 offset0:84 offset1:133
	ds_read2_b64 v[68:71], v207 offset0:92 offset1:141
	ds_read2_b64 v[16:19], v211 offset0:130 offset1:179
	ds_read2_b64 v[72:75], v208 offset0:10 offset1:59
	ds_read2_b64 v[80:83], v201 offset0:136 offset1:185
	ds_read2_b64 v[84:87], v206 offset0:54 offset1:103
	ds_read2_b64 v[90:93], v115 offset0:100 offset1:149
	ds_read2_b64 v[8:11], v66 offset0:98 offset1:147
	ds_read2_b64 v[94:97], v209 offset0:16 offset1:65
	ds_read2_b64 v[98:101], v207 offset0:190 offset1:239
	ds_read2_b64 v[102:105], v208 offset0:108 offset1:157
	ds_read2_b64 v[56:59], v117 offset0:106 offset1:155
	ds_read2_b64 v[52:55], v206 offset0:152 offset1:201
	ds_read2_b64 v[48:51], v210 offset0:70 offset1:119
	ds_read2_b64 v[4:7], v66 offset0:196 offset1:245
	ds_read2_b64 v[44:47], v209 offset0:114 offset1:163
	ds_read2_b64 v[40:43], v211 offset0:32 offset1:81
	ds_read2_b64 v[36:39], v208 offset0:206 offset1:255
	ds_read2_b64 v[32:35], v202 offset0:76 offset1:125
	ds_read2_b64 v[28:31], v116 offset0:122 offset1:171
	ds_read2_b64 v[20:23], v210 offset0:168 offset1:217
	ds_read_b64 v[60:61], v66 offset:18816
	buffer_store_dword v199, off, s[20:23], 0 offset:400 ; 4-byte Folded Spill
	v_lshlrev_b32_e32 v67, 3, v67
	global_load_dwordx4 v[107:110], v67, s[10:11] offset:32
	global_load_dwordx4 v[111:114], v67, s[10:11] offset:16
	global_load_dwordx4 v[115:118], v67, s[10:11]
	s_waitcnt vmcnt(0)
	buffer_store_dword v115, off, s[20:23], 0 offset:712 ; 4-byte Folded Spill
	s_nop 0
	buffer_store_dword v116, off, s[20:23], 0 offset:716 ; 4-byte Folded Spill
	buffer_store_dword v117, off, s[20:23], 0 offset:720 ; 4-byte Folded Spill
	buffer_store_dword v118, off, s[20:23], 0 offset:724 ; 4-byte Folded Spill
	buffer_store_dword v111, off, s[20:23], 0 offset:696 ; 4-byte Folded Spill
	s_nop 0
	buffer_store_dword v112, off, s[20:23], 0 offset:700 ; 4-byte Folded Spill
	buffer_store_dword v113, off, s[20:23], 0 offset:704 ; 4-byte Folded Spill
	buffer_store_dword v114, off, s[20:23], 0 offset:708 ; 4-byte Folded Spill
	;; [unrolled: 5-line block ×3, first 2 shown]
	buffer_store_dword v119, off, s[20:23], 0 offset:500 ; 4-byte Folded Spill
	s_waitcnt lgkmcnt(14)
	v_mul_f32_e32 v67, v3, v116
	v_fma_f32 v67, v2, v115, -v67
	v_mul_f32_e32 v196, v2, v116
	v_mul_f32_e32 v2, v63, v118
	v_fma_f32 v190, v62, v117, -v2
	v_mul_f32_e32 v2, v27, v112
	v_fmac_f32_e32 v196, v3, v115
	v_fma_f32 v2, v26, v111, -v2
	v_mul_f32_e32 v3, v26, v112
	v_mul_f32_e32 v26, v69, v114
	v_fma_f32 v188, v68, v113, -v26
	v_mul_f32_e32 v26, v19, v108
	v_fma_f32 v197, v18, v107, -v26
	v_mul_lo_u16_sdwa v26, v119, v106 dst_sel:DWORD dst_unused:UNUSED_PAD src0_sel:BYTE_0 src1_sel:DWORD
	v_fmac_f32_e32 v3, v27, v111
	v_sub_u16_sdwa v27, v119, v26 dst_sel:DWORD dst_unused:UNUSED_PAD src0_sel:DWORD src1_sel:BYTE_1
	v_lshrrev_b16_e32 v27, 1, v27
	v_and_b32_e32 v27, 0x7f, v27
	v_add_u16_sdwa v26, v27, v26 dst_sel:DWORD dst_unused:UNUSED_PAD src0_sel:DWORD src1_sel:BYTE_1
	v_lshrrev_b16_e32 v125, 2, v26
	v_mul_lo_u16_e32 v26, 7, v125
	v_sub_u16_e32 v26, v119, v26
	v_and_b32_e32 v126, 0xff, v26
	v_mul_f32_e32 v18, v18, v108
	v_mul_u32_u24_e32 v26, 6, v126
	v_mul_f32_e32 v191, v62, v118
	v_mul_f32_e32 v189, v68, v114
	v_fmac_f32_e32 v18, v19, v107
	v_mul_f32_e32 v19, v73, v110
	v_mul_f32_e32 v198, v72, v110
	v_lshlrev_b32_e32 v26, 3, v26
	v_fmac_f32_e32 v191, v63, v117
	v_fmac_f32_e32 v189, v69, v113
	v_fma_f32 v19, v72, v109, -v19
	v_fmac_f32_e32 v198, v73, v109
	global_load_dwordx4 v[107:110], v26, s[10:11] offset:32
	global_load_dwordx4 v[111:114], v26, s[10:11] offset:16
	global_load_dwordx4 v[115:118], v26, s[10:11]
	s_waitcnt vmcnt(0)
	buffer_store_dword v115, off, s[20:23], 0 offset:832 ; 4-byte Folded Spill
	s_nop 0
	buffer_store_dword v116, off, s[20:23], 0 offset:836 ; 4-byte Folded Spill
	buffer_store_dword v117, off, s[20:23], 0 offset:840 ; 4-byte Folded Spill
	;; [unrolled: 1-line block ×3, first 2 shown]
	v_mul_f32_e32 v26, v81, v116
	v_fma_f32 v171, v80, v115, -v26
	v_mul_f32_e32 v26, v65, v118
	v_fma_f32 v169, v64, v117, -v26
	;; [unrolled: 2-line block ×3, first 2 shown]
	buffer_store_dword v111, off, s[20:23], 0 offset:800 ; 4-byte Folded Spill
	s_nop 0
	buffer_store_dword v112, off, s[20:23], 0 offset:804 ; 4-byte Folded Spill
	buffer_store_dword v113, off, s[20:23], 0 offset:808 ; 4-byte Folded Spill
	;; [unrolled: 1-line block ×4, first 2 shown]
	s_nop 0
	buffer_store_dword v108, off, s[20:23], 0 offset:820 ; 4-byte Folded Spill
	buffer_store_dword v109, off, s[20:23], 0 offset:824 ; 4-byte Folded Spill
	;; [unrolled: 1-line block ×3, first 2 shown]
	v_mul_f32_e32 v170, v64, v118
	v_fmac_f32_e32 v170, v65, v117
	v_mul_f32_e32 v180, v80, v116
	v_fmac_f32_e32 v180, v81, v115
	v_mul_f32_e32 v62, v71, v114
	v_fma_f32 v163, v70, v113, -v62
	v_mul_f32_e32 v62, v91, v108
	v_fma_f32 v89, v90, v107, -v62
	;; [unrolled: 2-line block ×3, first 2 shown]
	v_mul_lo_u16_sdwa v62, v78, v106 dst_sel:DWORD dst_unused:UNUSED_PAD src0_sel:BYTE_0 src1_sel:DWORD
	v_sub_u16_sdwa v63, v78, v62 dst_sel:DWORD dst_unused:UNUSED_PAD src0_sel:DWORD src1_sel:BYTE_1
	v_lshrrev_b16_e32 v63, 1, v63
	v_and_b32_e32 v63, 0x7f, v63
	v_add_u16_sdwa v62, v63, v62 dst_sel:DWORD dst_unused:UNUSED_PAD src0_sel:DWORD src1_sel:BYTE_1
	v_lshrrev_b16_e32 v121, 2, v62
	v_mul_lo_u16_e32 v62, 7, v121
	v_sub_u16_e32 v62, v78, v62
	v_and_b32_e32 v123, 0xff, v62
	v_mul_u32_u24_e32 v62, 6, v123
	v_lshlrev_b32_e32 v62, 3, v62
	global_load_dwordx4 v[128:131], v62, s[10:11] offset:32
	global_load_dwordx4 v[136:139], v62, s[10:11] offset:16
	global_load_dwordx4 v[144:147], v62, s[10:11]
	v_mul_f32_e32 v183, v74, v110
	v_fmac_f32_e32 v183, v75, v109
	v_mul_f32_e32 v27, v84, v112
	v_mul_f32_e32 v181, v90, v108
	v_fmac_f32_e32 v181, v91, v107
	v_mul_f32_e32 v168, v70, v114
	v_fmac_f32_e32 v168, v71, v113
	v_fmac_f32_e32 v27, v85, v111
	s_waitcnt vmcnt(2)
	v_mul_f32_e32 v160, v92, v129
	s_waitcnt lgkmcnt(11)
	v_mul_f32_e32 v162, v102, v131
	s_waitcnt vmcnt(0)
	v_mul_f32_e32 v62, v83, v145
	v_fma_f32 v157, v82, v144, -v62
	v_mul_f32_e32 v62, v95, v147
	v_fma_f32 v143, v94, v146, -v62
	;; [unrolled: 2-line block ×6, first 2 shown]
	v_mul_lo_u16_sdwa v62, v79, v106 dst_sel:DWORD dst_unused:UNUSED_PAD src0_sel:BYTE_0 src1_sel:DWORD
	v_sub_u16_sdwa v63, v79, v62 dst_sel:DWORD dst_unused:UNUSED_PAD src0_sel:DWORD src1_sel:BYTE_1
	v_lshrrev_b16_e32 v63, 1, v63
	v_and_b32_e32 v63, 0x7f, v63
	v_add_u16_sdwa v62, v63, v62 dst_sel:DWORD dst_unused:UNUSED_PAD src0_sel:DWORD src1_sel:BYTE_1
	v_lshrrev_b16_e32 v119, 2, v62
	v_mul_lo_u16_e32 v62, 7, v119
	v_sub_u16_e32 v62, v79, v62
	v_and_b32_e32 v120, 0xff, v62
	v_mul_u32_u24_e32 v62, 6, v120
	v_lshlrev_b32_e32 v62, 3, v62
	global_load_dwordx4 v[148:151], v62, s[10:11] offset:32
	global_load_dwordx4 v[152:155], v62, s[10:11] offset:16
	global_load_dwordx4 v[164:167], v62, s[10:11]
	v_mul_f32_e32 v158, v82, v145
	v_fmac_f32_e32 v158, v83, v144
	v_mul_f32_e32 v156, v94, v147
	v_mul_f32_e32 v140, v86, v137
	v_fmac_f32_e32 v156, v95, v146
	v_mul_f32_e32 v142, v98, v139
	v_fmac_f32_e32 v142, v99, v138
	v_fmac_f32_e32 v140, v87, v136
	;; [unrolled: 1-line block ×4, first 2 shown]
	s_waitcnt vmcnt(2) lgkmcnt(8)
	v_mul_f32_e32 v68, v49, v149
	v_fma_f32 v72, v48, v148, -v68
	v_mul_f32_e32 v73, v48, v149
	v_mul_f32_e32 v48, v105, v151
	v_fma_f32 v76, v104, v150, -v48
	v_mul_lo_u16_sdwa v48, v88, v106 dst_sel:DWORD dst_unused:UNUSED_PAD src0_sel:BYTE_0 src1_sel:DWORD
	v_fmac_f32_e32 v73, v49, v148
	v_sub_u16_sdwa v49, v88, v48 dst_sel:DWORD dst_unused:UNUSED_PAD src0_sel:DWORD src1_sel:BYTE_1
	v_lshrrev_b16_e32 v49, 1, v49
	v_and_b32_e32 v49, 0x7f, v49
	s_waitcnt vmcnt(0)
	v_mul_f32_e32 v62, v57, v165
	v_mul_f32_e32 v63, v96, v167
	v_add_u16_sdwa v48, v49, v48 dst_sel:DWORD dst_unused:UNUSED_PAD src0_sel:DWORD src1_sel:BYTE_1
	v_fma_f32 v64, v56, v164, -v62
	v_mul_f32_e32 v65, v56, v165
	v_mul_f32_e32 v56, v97, v167
	v_fmac_f32_e32 v63, v97, v166
	v_lshrrev_b16_e32 v97, 2, v48
	v_mul_lo_u16_e32 v48, 7, v97
	v_sub_u16_e32 v48, v88, v48
	v_and_b32_e32 v118, 0xff, v48
	v_mul_u32_u24_e32 v48, 6, v118
	v_lshlrev_b32_e32 v48, 3, v48
	global_load_dwordx4 v[176:179], v48, s[10:11] offset:32
	global_load_dwordx4 v[184:187], v48, s[10:11] offset:16
	global_load_dwordx4 v[192:195], v48, s[10:11]
	v_fma_f32 v62, v96, v166, -v56
	v_mul_f32_e32 v56, v53, v153
	v_fma_f32 v56, v52, v152, -v56
	v_mul_f32_e32 v52, v52, v153
	v_fmac_f32_e32 v65, v57, v164
	v_fmac_f32_e32 v52, v53, v152
	v_mul_f32_e32 v53, v101, v155
	v_mul_f32_e32 v57, v100, v155
	v_fma_f32 v53, v100, v154, -v53
	v_fmac_f32_e32 v57, v101, v154
	v_mul_f32_e32 v77, v104, v151
	v_fmac_f32_e32 v77, v105, v150
	v_sub_f32_e32 v49, v142, v140
	s_waitcnt vmcnt(2) lgkmcnt(4)
	v_mul_f32_e32 v134, v36, v179
	s_waitcnt vmcnt(1)
	v_mul_f32_e32 v101, v40, v187
	s_waitcnt vmcnt(0)
	v_mul_f32_e32 v48, v59, v193
	v_fma_f32 v80, v58, v192, -v48
	v_mul_f32_e32 v48, v45, v195
	v_fma_f32 v74, v44, v194, -v48
	v_mul_f32_e32 v75, v44, v195
	v_mul_f32_e32 v44, v55, v185
	v_fma_f32 v92, v54, v184, -v44
	v_mul_f32_e32 v44, v41, v187
	v_fma_f32 v100, v40, v186, -v44
	;; [unrolled: 2-line block ×4, first 2 shown]
	v_mul_u32_u24_sdwa v36, v200, s8 dst_sel:DWORD dst_unused:UNUSED_PAD src0_sel:WORD_0 src1_sel:DWORD
	v_fmac_f32_e32 v134, v37, v178
	v_sub_u16_sdwa v37, v200, v36 dst_sel:DWORD dst_unused:UNUSED_PAD src0_sel:DWORD src1_sel:WORD_1
	v_lshrrev_b16_e32 v37, 1, v37
	v_add_u16_sdwa v36, v37, v36 dst_sel:DWORD dst_unused:UNUSED_PAD src0_sel:DWORD src1_sel:WORD_1
	v_lshrrev_b16_e32 v122, 2, v36
	v_mul_lo_u16_e32 v36, 7, v122
	v_sub_u16_e32 v124, v200, v36
	v_mul_lo_u16_e32 v36, 6, v124
	v_lshlrev_b32_e32 v36, 3, v36
	global_load_dwordx4 v[220:223], v36, s[10:11] offset:32
	global_load_dwordx4 v[224:227], v36, s[10:11] offset:16
	global_load_dwordx4 v[228:231], v36, s[10:11]
	v_add_f32_e32 v37, v27, v168
	v_fmac_f32_e32 v101, v41, v186
	v_sub_f32_e32 v27, v168, v27
	v_fmac_f32_e32 v75, v45, v194
	v_mul_f32_e32 v103, v50, v177
	v_fmac_f32_e32 v103, v51, v176
	v_mul_f32_e32 v93, v54, v185
	v_sub_f32_e32 v48, v141, v135
	v_mul_f32_e32 v81, v58, v193
	v_fmac_f32_e32 v93, v55, v184
	v_fmac_f32_e32 v81, v59, v192
	s_waitcnt vmcnt(2) lgkmcnt(1)
	v_mul_f32_e32 v95, v20, v221
	s_waitcnt vmcnt(1)
	v_mul_f32_e32 v83, v28, v225
	s_waitcnt vmcnt(0)
	v_mul_f32_e32 v36, v33, v229
	v_fma_f32 v68, v32, v228, -v36
	v_mul_f32_e32 v69, v32, v229
	v_mul_f32_e32 v32, v47, v231
	v_fma_f32 v84, v46, v230, -v32
	v_mul_f32_e32 v32, v29, v225
	v_fma_f32 v82, v28, v224, -v32
	;; [unrolled: 2-line block ×5, first 2 shown]
	v_mul_u32_u24_sdwa v20, v212, s8 dst_sel:DWORD dst_unused:UNUSED_PAD src0_sel:WORD_0 src1_sel:DWORD
	v_fmac_f32_e32 v95, v21, v220
	v_sub_u16_sdwa v21, v212, v20 dst_sel:DWORD dst_unused:UNUSED_PAD src0_sel:DWORD src1_sel:WORD_1
	v_lshrrev_b16_e32 v21, 1, v21
	v_add_u16_sdwa v20, v21, v20 dst_sel:DWORD dst_unused:UNUSED_PAD src0_sel:DWORD src1_sel:WORD_1
	v_lshrrev_b16_e32 v91, 2, v20
	v_mul_lo_u16_e32 v20, 7, v91
	v_sub_u16_e32 v96, v212, v20
	v_mul_lo_u16_e32 v20, 6, v96
	v_lshlrev_b32_e32 v20, 3, v20
	global_load_dwordx4 v[172:175], v20, s[10:11] offset:32
	global_load_dwordx4 v[232:235], v20, s[10:11] offset:16
	global_load_dwordx4 v[236:239], v20, s[10:11]
	v_add_f32_e32 v21, v190, v197
	v_fmac_f32_e32 v83, v29, v224
	v_fmac_f32_e32 v69, v33, v228
	v_mul_f32_e32 v99, v38, v223
	v_fmac_f32_e32 v99, v39, v222
	v_mul_f32_e32 v85, v46, v231
	v_mul_f32_e32 v87, v42, v227
	v_fmac_f32_e32 v85, v47, v230
	v_fmac_f32_e32 v87, v43, v226
	s_waitcnt lgkmcnt(0)
	; wave barrier
	s_waitcnt vmcnt(2) lgkmcnt(0)
	v_mul_f32_e32 v115, v22, v173
	s_waitcnt vmcnt(1)
	v_mul_f32_e32 v113, v16, v235
	s_waitcnt vmcnt(0)
	v_mul_f32_e32 v20, v35, v237
	v_fma_f32 v70, v34, v236, -v20
	v_mul_f32_e32 v20, v25, v239
	v_fma_f32 v104, v24, v238, -v20
	;; [unrolled: 2-line block ×5, first 2 shown]
	v_mul_f32_e32 v16, v61, v175
	v_mul_f32_e32 v105, v24, v239
	v_fma_f32 v116, v60, v174, -v16
	v_add_f32_e32 v16, v67, v19
	v_fmac_f32_e32 v105, v25, v238
	v_mul_f32_e32 v107, v30, v233
	v_fmac_f32_e32 v113, v17, v234
	v_fmac_f32_e32 v115, v23, v172
	v_add_f32_e32 v17, v196, v198
	v_add_f32_e32 v22, v191, v18
	v_sub_f32_e32 v23, v190, v197
	v_add_f32_e32 v24, v2, v188
	v_add_f32_e32 v25, v3, v189
	v_sub_f32_e32 v2, v188, v2
	v_add_f32_e32 v28, v21, v16
	v_mul_f32_e32 v71, v34, v237
	v_fmac_f32_e32 v107, v31, v232
	v_sub_f32_e32 v19, v67, v19
	v_sub_f32_e32 v18, v191, v18
	;; [unrolled: 1-line block ×3, first 2 shown]
	v_add_f32_e32 v29, v22, v17
	v_sub_f32_e32 v30, v21, v16
	v_sub_f32_e32 v31, v22, v17
	;; [unrolled: 1-line block ×5, first 2 shown]
	v_add_f32_e32 v22, v2, v23
	v_add_f32_e32 v24, v24, v28
	v_fmac_f32_e32 v71, v35, v236
	v_sub_f32_e32 v17, v17, v25
	v_sub_f32_e32 v34, v2, v23
	;; [unrolled: 1-line block ×5, first 2 shown]
	v_add_f32_e32 v25, v25, v29
	v_add_f32_e32 v19, v22, v19
	;; [unrolled: 1-line block ×3, first 2 shown]
	v_sub_f32_e32 v20, v196, v198
	v_add_f32_e32 v23, v25, v13
	v_mul_f32_e32 v29, 0xbf08b237, v35
	v_mov_b32_e32 v35, v22
	v_add_f32_e32 v33, v3, v18
	v_sub_f32_e32 v18, v18, v20
	v_mul_f32_e32 v12, 0x3f4a47b2, v16
	v_mul_f32_e32 v13, 0x3f4a47b2, v17
	;; [unrolled: 1-line block ×4, first 2 shown]
	v_fmac_f32_e32 v35, 0xbf955555, v24
	v_mov_b32_e32 v24, v23
	v_sub_f32_e32 v3, v20, v3
	v_add_f32_e32 v20, v33, v20
	v_mul_f32_e32 v17, 0x3d64c772, v32
	v_mul_f32_e32 v33, 0xbf5ff5aa, v36
	;; [unrolled: 1-line block ×3, first 2 shown]
	v_fmac_f32_e32 v24, 0xbf955555, v25
	v_fma_f32 v16, v30, s3, -v16
	v_fma_f32 v25, v30, s4, -v12
	v_fmac_f32_e32 v12, 0x3d64c772, v21
	v_fma_f32 v21, v31, s4, -v13
	v_fmac_f32_e32 v13, 0x3d64c772, v32
	;; [unrolled: 2-line block ×3, first 2 shown]
	v_fma_f32 v17, v31, s3, -v17
	v_fma_f32 v31, v18, s5, -v29
	v_fmac_f32_e32 v29, 0x3eae86e6, v3
	v_fmac_f32_e32 v33, 0xbeae86e6, v2
	;; [unrolled: 1-line block ×3, first 2 shown]
	v_add_f32_e32 v3, v13, v24
	v_fmac_f32_e32 v28, 0x3ee1c552, v19
	v_add_f32_e32 v2, v12, v35
	v_add_f32_e32 v12, v16, v35
	;; [unrolled: 1-line block ×5, first 2 shown]
	v_fmac_f32_e32 v29, 0x3ee1c552, v20
	v_fmac_f32_e32 v33, 0x3ee1c552, v19
	v_sub_f32_e32 v25, v3, v28
	v_add_f32_e32 v3, v28, v3
	v_add_f32_e32 v28, v171, v182
	v_add_f32_e32 v32, v169, v89
	v_fmac_f32_e32 v30, 0x3ee1c552, v19
	v_fmac_f32_e32 v34, 0x3ee1c552, v20
	v_add_f32_e32 v24, v29, v2
	v_sub_f32_e32 v19, v17, v33
	v_add_f32_e32 v17, v33, v17
	v_sub_f32_e32 v2, v2, v29
	v_add_f32_e32 v29, v180, v183
	v_add_f32_e32 v33, v170, v181
	;; [unrolled: 1-line block ×4, first 2 shown]
	v_fmac_f32_e32 v31, 0x3ee1c552, v20
	v_add_f32_e32 v18, v34, v16
	v_add_f32_e32 v21, v30, v13
	v_sub_f32_e32 v13, v13, v30
	v_sub_f32_e32 v16, v16, v34
	;; [unrolled: 1-line block ×5, first 2 shown]
	v_add_f32_e32 v39, v33, v29
	v_sub_f32_e32 v40, v32, v28
	v_sub_f32_e32 v28, v28, v36
	;; [unrolled: 1-line block ×3, first 2 shown]
	v_add_f32_e32 v36, v36, v38
	v_sub_f32_e32 v20, v12, v31
	v_add_f32_e32 v12, v31, v12
	v_sub_f32_e32 v31, v180, v183
	v_sub_f32_e32 v35, v170, v181
	;; [unrolled: 1-line block ×5, first 2 shown]
	v_add_f32_e32 v42, v26, v34
	v_sub_f32_e32 v44, v26, v34
	v_sub_f32_e32 v46, v34, v30
	v_add_f32_e32 v37, v37, v39
	v_add_f32_e32 v34, v36, v14
	v_add_f32_e32 v43, v27, v35
	v_sub_f32_e32 v45, v27, v35
	v_sub_f32_e32 v47, v35, v31
	v_add_f32_e32 v35, v37, v15
	v_mul_f32_e32 v38, 0xbf08b237, v44
	v_mov_b32_e32 v44, v34
	v_sub_f32_e32 v26, v30, v26
	v_add_f32_e32 v30, v42, v30
	v_mul_f32_e32 v14, 0x3f4a47b2, v28
	v_mul_f32_e32 v15, 0x3f4a47b2, v29
	;; [unrolled: 1-line block ×5, first 2 shown]
	v_fmac_f32_e32 v44, 0xbf955555, v36
	v_mov_b32_e32 v36, v35
	v_sub_f32_e32 v27, v31, v27
	v_add_f32_e32 v31, v43, v31
	v_mul_f32_e32 v39, 0xbf08b237, v45
	v_mul_f32_e32 v43, 0xbf5ff5aa, v47
	v_fmac_f32_e32 v36, 0xbf955555, v37
	v_fma_f32 v28, v40, s3, -v28
	v_fma_f32 v29, v41, s3, -v29
	;; [unrolled: 1-line block ×3, first 2 shown]
	v_fmac_f32_e32 v14, 0x3d64c772, v32
	v_fma_f32 v32, v41, s4, -v15
	v_fmac_f32_e32 v15, 0x3d64c772, v33
	v_fma_f32 v40, v46, s5, -v38
	v_fmac_f32_e32 v38, 0x3eae86e6, v26
	v_fmac_f32_e32 v42, 0xbeae86e6, v26
	v_fma_f32 v41, v47, s5, -v39
	v_fmac_f32_e32 v39, 0x3eae86e6, v27
	v_fmac_f32_e32 v43, 0xbeae86e6, v27
	v_add_f32_e32 v15, v15, v36
	v_add_f32_e32 v27, v29, v36
	v_add_f32_e32 v29, v32, v36
	v_fmac_f32_e32 v38, 0x3ee1c552, v30
	v_fmac_f32_e32 v42, 0x3ee1c552, v30
	v_add_f32_e32 v14, v14, v44
	v_add_f32_e32 v26, v28, v44
	;; [unrolled: 1-line block ×3, first 2 shown]
	v_fmac_f32_e32 v39, 0x3ee1c552, v31
	v_fmac_f32_e32 v41, 0x3ee1c552, v31
	;; [unrolled: 1-line block ×3, first 2 shown]
	v_sub_f32_e32 v37, v15, v38
	v_sub_f32_e32 v31, v29, v42
	v_add_f32_e32 v29, v42, v29
	v_add_f32_e32 v15, v38, v15
	v_add_f32_e32 v38, v157, v161
	v_add_f32_e32 v42, v143, v159
	v_fmac_f32_e32 v40, 0x3ee1c552, v30
	v_add_f32_e32 v36, v39, v14
	v_add_f32_e32 v30, v43, v28
	v_sub_f32_e32 v28, v28, v43
	v_sub_f32_e32 v14, v14, v39
	v_add_f32_e32 v39, v158, v162
	v_add_f32_e32 v43, v156, v160
	;; [unrolled: 1-line block ×8, first 2 shown]
	v_sub_f32_e32 v27, v27, v40
	v_sub_f32_e32 v40, v157, v161
	;; [unrolled: 1-line block ×6, first 2 shown]
	v_add_f32_e32 v51, v47, v51
	v_add_f32_e32 v46, v50, v8
	v_mul_f32_e32 v117, v60, v175
	v_sub_f32_e32 v32, v26, v41
	v_add_f32_e32 v26, v41, v26
	v_sub_f32_e32 v41, v158, v162
	v_sub_f32_e32 v45, v156, v160
	;; [unrolled: 1-line block ×5, first 2 shown]
	v_add_f32_e32 v58, v48, v44
	v_sub_f32_e32 v60, v48, v44
	v_sub_f32_e32 v44, v44, v40
	v_add_f32_e32 v47, v51, v9
	v_mov_b32_e32 v67, v46
	v_fmac_f32_e32 v117, v61, v174
	v_add_f32_e32 v59, v49, v45
	v_sub_f32_e32 v61, v49, v45
	v_sub_f32_e32 v48, v40, v48
	;; [unrolled: 1-line block ×3, first 2 shown]
	v_add_f32_e32 v40, v58, v40
	v_mul_f32_e32 v8, 0x3f4a47b2, v38
	v_mul_f32_e32 v9, 0x3f4a47b2, v39
	;; [unrolled: 1-line block ×6, first 2 shown]
	v_fmac_f32_e32 v67, 0xbf955555, v50
	v_mov_b32_e32 v50, v47
	v_sub_f32_e32 v49, v41, v49
	v_add_f32_e32 v41, v59, v41
	v_mul_f32_e32 v59, 0xbf08b237, v61
	v_mul_f32_e32 v61, 0xbf5ff5aa, v45
	v_fmac_f32_e32 v50, 0xbf955555, v51
	v_fma_f32 v38, v54, s3, -v38
	v_fma_f32 v39, v55, s3, -v39
	;; [unrolled: 1-line block ×3, first 2 shown]
	v_fmac_f32_e32 v8, 0x3d64c772, v42
	v_fma_f32 v42, v55, s4, -v9
	v_fmac_f32_e32 v9, 0x3d64c772, v43
	v_fma_f32 v54, v44, s5, -v58
	v_fmac_f32_e32 v58, 0x3eae86e6, v48
	v_fmac_f32_e32 v60, 0xbeae86e6, v48
	v_fma_f32 v55, v45, s5, -v59
	v_fmac_f32_e32 v59, 0x3eae86e6, v49
	v_fmac_f32_e32 v61, 0xbeae86e6, v49
	v_add_f32_e32 v9, v9, v50
	v_add_f32_e32 v39, v39, v50
	v_add_f32_e32 v50, v42, v50
	v_fmac_f32_e32 v58, 0x3ee1c552, v40
	v_fmac_f32_e32 v60, 0x3ee1c552, v40
	v_add_f32_e32 v8, v8, v67
	v_add_f32_e32 v51, v51, v67
	v_fmac_f32_e32 v59, 0x3ee1c552, v41
	v_fmac_f32_e32 v55, 0x3ee1c552, v41
	;; [unrolled: 1-line block ×3, first 2 shown]
	v_sub_f32_e32 v49, v9, v58
	v_sub_f32_e32 v43, v50, v60
	v_add_f32_e32 v41, v60, v50
	v_add_f32_e32 v9, v58, v9
	;; [unrolled: 1-line block ×4, first 2 shown]
	v_fmac_f32_e32 v54, 0x3ee1c552, v40
	v_add_f32_e32 v48, v59, v8
	v_add_f32_e32 v42, v61, v51
	v_sub_f32_e32 v40, v51, v61
	v_sub_f32_e32 v8, v8, v59
	v_add_f32_e32 v51, v65, v77
	v_add_f32_e32 v59, v63, v73
	v_sub_f32_e32 v60, v62, v72
	v_add_f32_e32 v62, v56, v53
	v_sub_f32_e32 v53, v53, v56
	v_add_f32_e32 v56, v58, v50
	v_add_f32_e32 v38, v38, v67
	;; [unrolled: 1-line block ×3, first 2 shown]
	v_sub_f32_e32 v39, v39, v54
	v_sub_f32_e32 v54, v64, v76
	;; [unrolled: 1-line block ×3, first 2 shown]
	v_add_f32_e32 v63, v52, v57
	v_sub_f32_e32 v52, v57, v52
	v_add_f32_e32 v57, v59, v51
	v_sub_f32_e32 v64, v58, v50
	v_sub_f32_e32 v67, v62, v58
	v_add_f32_e32 v58, v53, v60
	v_add_f32_e32 v56, v62, v56
	v_sub_f32_e32 v44, v38, v55
	v_add_f32_e32 v38, v55, v38
	v_sub_f32_e32 v55, v65, v77
	v_sub_f32_e32 v65, v59, v51
	;; [unrolled: 1-line block ×3, first 2 shown]
	v_add_f32_e32 v59, v52, v61
	v_sub_f32_e32 v73, v53, v60
	v_sub_f32_e32 v53, v54, v53
	;; [unrolled: 1-line block ×3, first 2 shown]
	v_add_f32_e32 v57, v63, v57
	v_add_f32_e32 v54, v58, v54
	v_add_f32_e32 v58, v56, v10
	v_sub_f32_e32 v50, v50, v62
	v_sub_f32_e32 v51, v51, v63
	;; [unrolled: 1-line block ×5, first 2 shown]
	v_add_f32_e32 v55, v59, v55
	v_add_f32_e32 v59, v57, v11
	v_mov_b32_e32 v77, v58
	v_mul_f32_e32 v10, 0x3f4a47b2, v50
	v_mul_f32_e32 v11, 0x3f4a47b2, v51
	;; [unrolled: 1-line block ×6, first 2 shown]
	v_fmac_f32_e32 v77, 0xbf955555, v56
	v_mov_b32_e32 v56, v59
	v_mul_f32_e32 v73, 0xbf5ff5aa, v60
	v_fmac_f32_e32 v56, 0xbf955555, v57
	v_fma_f32 v50, v64, s3, -v50
	v_fma_f32 v51, v65, s3, -v51
	;; [unrolled: 1-line block ×3, first 2 shown]
	v_fmac_f32_e32 v10, 0x3d64c772, v67
	v_fma_f32 v64, v65, s4, -v11
	v_fmac_f32_e32 v11, 0x3d64c772, v72
	v_fma_f32 v65, v60, s5, -v62
	v_fmac_f32_e32 v62, 0x3eae86e6, v53
	v_fma_f32 v67, v61, s5, -v63
	v_mul_f32_e32 v76, 0xbf5ff5aa, v61
	v_fmac_f32_e32 v63, 0x3eae86e6, v52
	v_fmac_f32_e32 v73, 0xbeae86e6, v53
	v_add_f32_e32 v11, v11, v56
	v_add_f32_e32 v50, v50, v77
	v_fmac_f32_e32 v62, 0x3ee1c552, v54
	v_fmac_f32_e32 v67, 0x3ee1c552, v55
	;; [unrolled: 1-line block ×3, first 2 shown]
	v_add_f32_e32 v10, v10, v77
	v_add_f32_e32 v51, v51, v56
	;; [unrolled: 1-line block ×3, first 2 shown]
	v_fmac_f32_e32 v63, 0x3ee1c552, v55
	v_fmac_f32_e32 v65, 0x3ee1c552, v54
	;; [unrolled: 1-line block ×3, first 2 shown]
	v_sub_f32_e32 v61, v11, v62
	v_sub_f32_e32 v56, v50, v67
	v_add_f32_e32 v50, v67, v50
	v_add_f32_e32 v11, v62, v11
	;; [unrolled: 1-line block ×5, first 2 shown]
	v_fmac_f32_e32 v76, 0x3ee1c552, v55
	v_add_f32_e32 v60, v63, v10
	v_sub_f32_e32 v55, v53, v73
	v_add_f32_e32 v57, v65, v51
	v_sub_f32_e32 v51, v51, v65
	;; [unrolled: 2-line block ×5, first 2 shown]
	v_sub_f32_e32 v74, v75, v103
	v_add_f32_e32 v75, v92, v100
	v_add_f32_e32 v81, v67, v62
	;; [unrolled: 1-line block ×3, first 2 shown]
	v_sub_f32_e32 v52, v52, v76
	v_sub_f32_e32 v64, v80, v133
	v_add_f32_e32 v76, v93, v101
	v_sub_f32_e32 v77, v100, v92
	v_sub_f32_e32 v80, v101, v93
	v_add_f32_e32 v89, v72, v63
	v_sub_f32_e32 v90, v67, v62
	v_sub_f32_e32 v62, v62, v75
	;; [unrolled: 1-line block ×3, first 2 shown]
	v_add_f32_e32 v75, v75, v81
	v_sub_f32_e32 v92, v72, v63
	v_sub_f32_e32 v63, v63, v76
	;; [unrolled: 1-line block ×3, first 2 shown]
	v_add_f32_e32 v93, v77, v73
	v_add_f32_e32 v100, v80, v74
	v_sub_f32_e32 v102, v80, v74
	v_sub_f32_e32 v103, v65, v80
	v_add_f32_e32 v76, v76, v89
	v_add_f32_e32 v80, v75, v4
	v_sub_f32_e32 v101, v77, v73
	v_sub_f32_e32 v77, v64, v77
	;; [unrolled: 1-line block ×3, first 2 shown]
	v_add_f32_e32 v64, v93, v64
	v_add_f32_e32 v81, v76, v5
	v_mov_b32_e32 v93, v80
	v_sub_f32_e32 v74, v74, v65
	v_add_f32_e32 v65, v100, v65
	v_mul_f32_e32 v4, 0x3f4a47b2, v62
	v_mul_f32_e32 v5, 0x3f4a47b2, v63
	;; [unrolled: 1-line block ×7, first 2 shown]
	v_fmac_f32_e32 v93, 0xbf955555, v75
	v_mov_b32_e32 v75, v81
	v_mul_f32_e32 v102, 0xbf5ff5aa, v74
	v_fmac_f32_e32 v75, 0xbf955555, v76
	v_fma_f32 v62, v90, s3, -v62
	v_fma_f32 v63, v92, s3, -v63
	;; [unrolled: 1-line block ×3, first 2 shown]
	v_fmac_f32_e32 v4, 0x3d64c772, v67
	v_fma_f32 v67, v92, s4, -v5
	v_fmac_f32_e32 v5, 0x3d64c772, v72
	v_fma_f32 v90, v73, s5, -v89
	;; [unrolled: 2-line block ×3, first 2 shown]
	v_fmac_f32_e32 v100, 0x3eae86e6, v103
	v_fmac_f32_e32 v101, 0xbeae86e6, v77
	;; [unrolled: 1-line block ×3, first 2 shown]
	v_add_f32_e32 v4, v4, v93
	v_add_f32_e32 v5, v5, v75
	;; [unrolled: 1-line block ×5, first 2 shown]
	v_fmac_f32_e32 v89, 0x3ee1c552, v64
	v_fmac_f32_e32 v100, 0x3ee1c552, v65
	;; [unrolled: 1-line block ×5, first 2 shown]
	v_add_f32_e32 v76, v76, v93
	v_fmac_f32_e32 v102, 0x3ee1c552, v65
	v_add_f32_e32 v92, v100, v4
	v_sub_f32_e32 v93, v5, v89
	v_sub_f32_e32 v73, v67, v101
	v_sub_f32_e32 v74, v62, v108
	v_add_f32_e32 v75, v90, v63
	v_add_f32_e32 v64, v108, v62
	v_sub_f32_e32 v65, v63, v90
	v_add_f32_e32 v77, v101, v67
	v_sub_f32_e32 v62, v4, v100
	v_add_f32_e32 v63, v89, v5
	v_add_f32_e32 v4, v68, v98
	;; [unrolled: 1-line block ×3, first 2 shown]
	v_sub_f32_e32 v67, v68, v98
	v_sub_f32_e32 v68, v69, v99
	v_add_f32_e32 v69, v84, v94
	v_add_f32_e32 v89, v85, v95
	;; [unrolled: 1-line block ×3, first 2 shown]
	v_sub_f32_e32 v82, v86, v82
	v_add_f32_e32 v86, v69, v4
	v_sub_f32_e32 v84, v84, v94
	v_add_f32_e32 v94, v83, v87
	;; [unrolled: 2-line block ×3, first 2 shown]
	v_add_f32_e32 v86, v90, v86
	v_sub_f32_e32 v85, v85, v95
	v_sub_f32_e32 v99, v89, v5
	;; [unrolled: 1-line block ×4, first 2 shown]
	v_add_f32_e32 v95, v82, v84
	v_add_f32_e32 v87, v94, v87
	v_add_f32_e32 v94, v86, v6
	v_sub_f32_e32 v98, v69, v4
	v_sub_f32_e32 v4, v4, v90
	;; [unrolled: 1-line block ×5, first 2 shown]
	v_add_f32_e32 v67, v95, v67
	v_add_f32_e32 v95, v87, v7
	v_mov_b32_e32 v103, v94
	v_add_f32_e32 v72, v102, v76
	v_sub_f32_e32 v76, v76, v102
	v_sub_f32_e32 v69, v90, v69
	v_add_f32_e32 v100, v83, v85
	v_sub_f32_e32 v102, v83, v85
	v_mul_f32_e32 v4, 0x3f4a47b2, v4
	v_mul_f32_e32 v5, 0x3f4a47b2, v5
	;; [unrolled: 1-line block ×3, first 2 shown]
	v_fmac_f32_e32 v103, 0xbf955555, v86
	v_mov_b32_e32 v86, v95
	v_sub_f32_e32 v83, v68, v83
	v_sub_f32_e32 v85, v85, v68
	v_add_f32_e32 v68, v100, v68
	v_mul_f32_e32 v6, 0x3d64c772, v69
	v_mul_f32_e32 v7, 0x3d64c772, v89
	v_mul_f32_e32 v100, 0xbf08b237, v102
	v_mul_f32_e32 v101, 0xbf5ff5aa, v84
	v_fmac_f32_e32 v86, 0xbf955555, v87
	v_fma_f32 v87, v98, s4, -v4
	v_fmac_f32_e32 v4, 0x3d64c772, v69
	v_fma_f32 v69, v99, s4, -v5
	;; [unrolled: 2-line block ×3, first 2 shown]
	v_fmac_f32_e32 v90, 0x3eae86e6, v82
	v_mul_f32_e32 v102, 0xbf5ff5aa, v85
	v_fma_f32 v6, v98, s3, -v6
	v_fma_f32 v7, v99, s3, -v7
	;; [unrolled: 1-line block ×3, first 2 shown]
	v_fmac_f32_e32 v100, 0x3eae86e6, v83
	v_fmac_f32_e32 v101, 0xbeae86e6, v82
	v_add_f32_e32 v5, v5, v86
	v_fmac_f32_e32 v90, 0x3ee1c552, v67
	v_fmac_f32_e32 v102, 0xbeae86e6, v83
	v_add_f32_e32 v4, v4, v103
	v_add_f32_e32 v6, v6, v103
	;; [unrolled: 1-line block ×4, first 2 shown]
	v_fmac_f32_e32 v100, 0x3ee1c552, v68
	v_fmac_f32_e32 v89, 0x3ee1c552, v67
	;; [unrolled: 1-line block ×4, first 2 shown]
	v_sub_f32_e32 v69, v5, v90
	v_add_f32_e32 v5, v90, v5
	v_add_f32_e32 v67, v70, v116
	;; [unrolled: 1-line block ×4, first 2 shown]
	v_fmac_f32_e32 v102, 0x3ee1c552, v68
	v_add_f32_e32 v68, v100, v4
	v_sub_f32_e32 v85, v83, v101
	v_sub_f32_e32 v86, v6, v98
	v_add_f32_e32 v87, v89, v7
	v_add_f32_e32 v6, v98, v6
	v_sub_f32_e32 v7, v7, v89
	v_add_f32_e32 v83, v101, v83
	v_sub_f32_e32 v4, v4, v100
	v_add_f32_e32 v89, v71, v117
	v_add_f32_e32 v98, v105, v115
	v_sub_f32_e32 v100, v105, v115
	v_add_f32_e32 v101, v106, v112
	v_add_f32_e32 v105, v90, v67
	;; [unrolled: 1-line block ×3, first 2 shown]
	v_sub_f32_e32 v82, v82, v102
	v_sub_f32_e32 v99, v104, v114
	v_add_f32_e32 v102, v107, v113
	v_sub_f32_e32 v103, v112, v106
	v_sub_f32_e32 v104, v113, v107
	v_add_f32_e32 v106, v98, v89
	v_sub_f32_e32 v107, v90, v67
	v_sub_f32_e32 v67, v67, v101
	;; [unrolled: 1-line block ×3, first 2 shown]
	v_add_f32_e32 v101, v101, v105
	v_sub_f32_e32 v71, v71, v117
	v_sub_f32_e32 v108, v98, v89
	v_sub_f32_e32 v89, v89, v102
	v_sub_f32_e32 v98, v102, v98
	v_add_f32_e32 v102, v102, v106
	v_add_f32_e32 v0, v101, v0
	v_sub_f32_e32 v70, v70, v116
	v_add_f32_e32 v109, v103, v99
	v_add_f32_e32 v110, v104, v100
	v_sub_f32_e32 v111, v103, v99
	v_sub_f32_e32 v112, v104, v100
	;; [unrolled: 1-line block ×3, first 2 shown]
	v_add_f32_e32 v1, v102, v1
	v_mov_b32_e32 v113, v0
	v_sub_f32_e32 v103, v70, v103
	v_sub_f32_e32 v104, v71, v104
	;; [unrolled: 1-line block ×3, first 2 shown]
	v_add_f32_e32 v70, v109, v70
	v_add_f32_e32 v71, v110, v71
	v_mul_f32_e32 v67, 0x3f4a47b2, v67
	v_mul_f32_e32 v89, 0x3f4a47b2, v89
	;; [unrolled: 1-line block ×7, first 2 shown]
	v_fmac_f32_e32 v113, 0xbf955555, v101
	v_mov_b32_e32 v101, v1
	v_mul_f32_e32 v111, 0xbf5ff5aa, v99
	v_fmac_f32_e32 v101, 0xbf955555, v102
	v_fma_f32 v102, v107, s3, -v105
	v_fma_f32 v105, v108, s3, -v106
	v_fma_f32 v106, v107, s4, -v67
	v_fmac_f32_e32 v67, 0x3d64c772, v90
	v_fma_f32 v90, v108, s4, -v89
	v_fmac_f32_e32 v89, 0x3d64c772, v98
	v_fma_f32 v98, v99, s5, -v109
	v_fma_f32 v99, v100, s5, -v110
	v_fmac_f32_e32 v110, 0x3eae86e6, v104
	v_fmac_f32_e32 v112, 0xbeae86e6, v104
	;; [unrolled: 1-line block ×4, first 2 shown]
	v_add_f32_e32 v67, v67, v113
	v_add_f32_e32 v103, v106, v113
	v_fmac_f32_e32 v110, 0x3ee1c552, v71
	v_fmac_f32_e32 v112, 0x3ee1c552, v71
	v_add_f32_e32 v116, v110, v67
	v_add_f32_e32 v104, v112, v103
	v_sub_f32_e32 v106, v103, v112
	v_sub_f32_e32 v112, v67, v110
	v_mul_u32_u24_e32 v67, 49, v127
	v_add_lshl_u32 v67, v67, v132, 3
	buffer_store_dword v67, off, s[20:23], 0 offset:744 ; 4-byte Folded Spill
	ds_write2_b64 v67, v[22:23], v[24:25] offset1:7
	ds_write2_b64 v67, v[18:19], v[20:21] offset0:14 offset1:21
	ds_write2_b64 v67, v[12:13], v[16:17] offset0:28 offset1:35
	ds_write_b64 v67, v[2:3] offset:336
	v_mul_u32_u24_e32 v2, 49, v125
	v_add_lshl_u32 v2, v2, v126, 3
	buffer_store_dword v2, off, s[20:23], 0 offset:748 ; 4-byte Folded Spill
	ds_write2_b64 v2, v[34:35], v[36:37] offset1:7
	ds_write2_b64 v2, v[30:31], v[32:33] offset0:14 offset1:21
	ds_write2_b64 v2, v[26:27], v[28:29] offset0:28 offset1:35
	ds_write_b64 v2, v[14:15] offset:336
	;; [unrolled: 7-line block ×5, first 2 shown]
	v_mad_legacy_u16 v2, v122, 49, v124
	v_mad_u64_u32 v[60:61], s[8:9], v199, 48, s[10:11]
	v_lshlrev_b32_e32 v2, 3, v2
	v_add_f32_e32 v89, v89, v101
	v_add_f32_e32 v100, v102, v113
	;; [unrolled: 1-line block ×4, first 2 shown]
	v_fmac_f32_e32 v109, 0x3ee1c552, v70
	v_fmac_f32_e32 v98, 0x3ee1c552, v70
	;; [unrolled: 1-line block ×4, first 2 shown]
	ds_write2_b64 v2, v[94:95], v[68:69] offset1:7
	ds_write2_b64 v2, v[84:85], v[86:87] offset0:14 offset1:21
	ds_write2_b64 v2, v[6:7], v[82:83] offset0:28 offset1:35
	buffer_store_dword v2, off, s[20:23], 0 offset:916 ; 4-byte Folded Spill
	ds_write_b64 v2, v[4:5] offset:336
	v_mad_legacy_u16 v2, v91, 49, v96
	v_sub_f32_e32 v117, v89, v109
	v_sub_f32_e32 v105, v90, v111
	;; [unrolled: 1-line block ×3, first 2 shown]
	v_add_f32_e32 v115, v98, v102
	v_add_f32_e32 v113, v109, v89
	v_lshlrev_b32_e32 v2, 3, v2
	v_add_f32_e32 v70, v99, v100
	v_sub_f32_e32 v71, v102, v98
	v_add_f32_e32 v107, v111, v90
	buffer_store_dword v2, off, s[20:23], 0 offset:780 ; 4-byte Folded Spill
	ds_write2_b64 v2, v[0:1], v[116:117] offset1:7
	ds_write2_b64 v2, v[104:105], v[114:115] offset0:14 offset1:21
	ds_write2_b64 v2, v[70:71], v[106:107] offset0:28 offset1:35
	ds_write_b64 v2, v[112:113] offset:336
	s_waitcnt lgkmcnt(0)
	; wave barrier
	s_waitcnt lgkmcnt(0)
	ds_read2_b64 v[12:15], v66 offset1:49
	ds_read2_b64 v[72:75], v201 offset0:38 offset1:87
	ds_read2_b64 v[0:3], v202 offset0:174 offset1:223
	;; [unrolled: 1-line block ×23, first 2 shown]
	ds_read_b64 v[62:63], v66 offset:18816
	global_load_dwordx4 v[132:135], v[60:61], off offset:368
	global_load_dwordx4 v[124:127], v[60:61], off offset:352
	;; [unrolled: 1-line block ×3, first 2 shown]
	s_movk_i32 s8, 0x4f
	v_mul_lo_u16_sdwa v10, v79, s8 dst_sel:DWORD dst_unused:UNUSED_PAD src0_sel:BYTE_0 src1_sel:DWORD
	v_sub_u16_sdwa v11, v79, v10 dst_sel:DWORD dst_unused:UNUSED_PAD src0_sel:DWORD src1_sel:BYTE_1
	v_lshrrev_b16_e32 v11, 1, v11
	v_and_b32_e32 v11, 0x7f, v11
	v_add_u16_sdwa v10, v11, v10 dst_sel:DWORD dst_unused:UNUSED_PAD src0_sel:DWORD src1_sel:BYTE_1
	v_lshrrev_b16_e32 v10, 5, v10
	v_mul_lo_u16_e32 v10, 49, v10
	v_sub_u16_e32 v10, v79, v10
	v_and_b32_e32 v10, 0xff, v10
	s_waitcnt vmcnt(1) lgkmcnt(14)
	v_mul_f32_e32 v110, v4, v127
	s_waitcnt vmcnt(0)
	v_mul_f32_e32 v8, v75, v121
	v_fma_f32 v9, v74, v120, -v8
	v_mul_f32_e32 v8, v1, v123
	v_fma_f32 v111, v0, v122, -v8
	v_mul_f32_e32 v90, v0, v123
	v_mul_f32_e32 v0, v27, v125
	v_fma_f32 v97, v26, v124, -v0
	v_mul_f32_e32 v0, v5, v127
	v_fma_f32 v109, v4, v126, -v0
	;; [unrolled: 2-line block ×3, first 2 shown]
	v_mul_f32_e32 v4, v3, v123
	v_mul_f32_e32 v96, v74, v121
	v_fma_f32 v67, v2, v122, -v4
	v_mul_f32_e32 v74, v2, v123
	v_mul_f32_e32 v2, v103, v125
	v_fma_f32 v68, v102, v124, -v2
	v_mul_f32_e32 v2, v7, v127
	v_fmac_f32_e32 v96, v75, v120
	v_fma_f32 v75, v6, v126, -v2
	v_mul_f32_e32 v4, v6, v127
	v_mul_lo_u16_sdwa v6, v78, s8 dst_sel:DWORD dst_unused:UNUSED_PAD src0_sel:BYTE_0 src1_sel:DWORD
	v_fmac_f32_e32 v4, v7, v126
	v_sub_u16_sdwa v7, v78, v6 dst_sel:DWORD dst_unused:UNUSED_PAD src0_sel:DWORD src1_sel:BYTE_1
	v_lshrrev_b16_e32 v7, 1, v7
	v_and_b32_e32 v7, 0x7f, v7
	v_add_u16_sdwa v6, v7, v6 dst_sel:DWORD dst_unused:UNUSED_PAD src0_sel:DWORD src1_sel:BYTE_1
	v_lshrrev_b16_e32 v6, 5, v6
	v_mul_lo_u16_e32 v6, 49, v6
	v_sub_u16_e32 v6, v78, v6
	v_and_b32_e32 v6, 0xff, v6
	buffer_store_dword v6, off, s[20:23], 0 offset:416 ; 4-byte Folded Spill
	v_mad_u64_u32 v[6:7], s[16:17], v6, 48, s[10:11]
	v_mul_f32_e32 v0, v19, v133
	v_mul_f32_e32 v2, v113, v133
	v_fmac_f32_e32 v90, v1, v122
	v_mul_f32_e32 v108, v26, v125
	v_fma_f32 v26, v18, v132, -v0
	v_mul_f32_e32 v1, v18, v133
	v_mul_f32_e32 v0, v85, v135
	v_fma_f32 v64, v112, v132, -v2
	v_mul_f32_e32 v2, v87, v135
	v_fmac_f32_e32 v1, v19, v132
	v_fma_f32 v18, v84, v134, -v0
	v_mul_f32_e32 v0, v84, v135
	v_fma_f32 v19, v86, v134, -v2
	v_mul_f32_e32 v2, v86, v135
	v_fmac_f32_e32 v0, v85, v134
	v_fmac_f32_e32 v2, v87, v134
	global_load_dwordx4 v[156:159], v[6:7], off offset:368
	global_load_dwordx4 v[84:87], v[6:7], off offset:352
	;; [unrolled: 1-line block ×3, first 2 shown]
	v_fmac_f32_e32 v108, v27, v124
	v_mul_f32_e32 v27, v98, v121
	v_fmac_f32_e32 v27, v99, v120
	v_fmac_f32_e32 v74, v3, v122
	v_mul_f32_e32 v3, v112, v133
	v_fmac_f32_e32 v110, v5, v126
	v_mul_f32_e32 v5, v102, v125
	v_fmac_f32_e32 v5, v103, v124
	v_fmac_f32_e32 v3, v113, v132
	s_waitcnt vmcnt(0)
	v_mul_f32_e32 v6, v101, v141
	v_mul_f32_e32 v255, v100, v141
	v_fma_f32 v254, v100, v140, -v6
	v_fmac_f32_e32 v255, v101, v140
	v_mov_b32_e32 v101, v87
	v_mov_b32_e32 v100, v86
	;; [unrolled: 1-line block ×4, first 2 shown]
	buffer_store_dword v98, off, s[20:23], 0 offset:900 ; 4-byte Folded Spill
	s_nop 0
	buffer_store_dword v99, off, s[20:23], 0 offset:904 ; 4-byte Folded Spill
	buffer_store_dword v100, off, s[20:23], 0 offset:908 ; 4-byte Folded Spill
	;; [unrolled: 1-line block ×4, first 2 shown]
	s_nop 0
	buffer_store_dword v157, off, s[20:23], 0 offset:924 ; 4-byte Folded Spill
	buffer_store_dword v158, off, s[20:23], 0 offset:928 ; 4-byte Folded Spill
	;; [unrolled: 1-line block ×3, first 2 shown]
	s_waitcnt lgkmcnt(13)
	v_mul_f32_e32 v6, v117, v143
	v_fma_f32 v252, v116, v142, -v6
	buffer_store_dword v10, off, s[20:23], 0 offset:408 ; 4-byte Folded Spill
	v_mad_u64_u32 v[10:11], s[16:17], v10, 48, s[10:11]
	v_mul_f32_e32 v253, v116, v143
	v_fmac_f32_e32 v253, v117, v142
	v_mul_f32_e32 v6, v105, v99
	v_fma_f32 v86, v104, v98, -v6
	s_waitcnt lgkmcnt(12)
	v_mul_f32_e32 v6, v181, v101
	v_fma_f32 v84, v180, v100, -v6
	v_mul_f32_e32 v6, v115, v157
	v_fma_f32 v78, v114, v156, -v6
	s_waitcnt lgkmcnt(11)
	v_mul_f32_e32 v6, v189, v159
	v_mul_f32_e32 v7, v114, v157
	v_fma_f32 v76, v188, v158, -v6
	v_mul_f32_e32 v6, v188, v159
	v_fmac_f32_e32 v7, v115, v156
	v_fmac_f32_e32 v6, v189, v158
	global_load_dwordx4 v[156:159], v[10:11], off offset:368
	global_load_dwordx4 v[160:163], v[10:11], off offset:352
	;; [unrolled: 1-line block ×3, first 2 shown]
	v_mul_f32_e32 v89, v104, v99
	v_fmac_f32_e32 v89, v105, v98
	v_mul_f32_e32 v8, v180, v101
	v_fmac_f32_e32 v8, v181, v100
	s_waitcnt vmcnt(2)
	v_mul_f32_e32 v251, v190, v159
	s_waitcnt vmcnt(1)
	v_mul_f32_e32 v240, v182, v163
	s_waitcnt vmcnt(0) lgkmcnt(10)
	v_mul_f32_e32 v10, v57, v169
	v_fma_f32 v105, v56, v168, -v10
	v_mul_f32_e32 v106, v56, v169
	v_mul_f32_e32 v10, v119, v171
	v_fmac_f32_e32 v106, v57, v168
	v_fma_f32 v57, v118, v170, -v10
	s_waitcnt lgkmcnt(9)
	v_mul_f32_e32 v10, v53, v161
	v_fma_f32 v56, v52, v160, -v10
	v_mul_f32_e32 v52, v52, v161
	v_mul_f32_e32 v10, v183, v163
	v_fmac_f32_e32 v52, v53, v160
	v_fma_f32 v53, v182, v162, -v10
	s_waitcnt lgkmcnt(8)
	v_mul_f32_e32 v10, v49, v157
	v_fma_f32 v241, v48, v156, -v10
	v_mul_f32_e32 v10, v191, v159
	v_fma_f32 v250, v190, v158, -v10
	v_mul_lo_u16_sdwa v10, v88, s8 dst_sel:DWORD dst_unused:UNUSED_PAD src0_sel:BYTE_0 src1_sel:DWORD
	v_sub_u16_sdwa v11, v88, v10 dst_sel:DWORD dst_unused:UNUSED_PAD src0_sel:DWORD src1_sel:BYTE_1
	v_lshrrev_b16_e32 v11, 1, v11
	v_and_b32_e32 v11, 0x7f, v11
	v_add_u16_sdwa v10, v11, v10 dst_sel:DWORD dst_unused:UNUSED_PAD src0_sel:DWORD src1_sel:BYTE_1
	v_lshrrev_b16_e32 v10, 5, v10
	v_mul_lo_u16_e32 v10, 49, v10
	v_sub_u16_e32 v10, v88, v10
	v_and_b32_e32 v10, 0xff, v10
	buffer_store_dword v10, off, s[20:23], 0 offset:404 ; 4-byte Folded Spill
	v_mad_u64_u32 v[10:11], s[8:9], v10, 48, s[10:11]
	v_fmac_f32_e32 v240, v183, v162
	v_fmac_f32_e32 v251, v191, v158
	global_load_dwordx4 v[180:183], v[10:11], off offset:368
	global_load_dwordx4 v[188:191], v[10:11], off offset:352
	;; [unrolled: 1-line block ×3, first 2 shown]
	s_movk_i32 s8, 0x4e5f
	v_mul_f32_e32 v107, v118, v171
	v_fmac_f32_e32 v107, v119, v170
	v_mul_f32_e32 v249, v48, v157
	v_fmac_f32_e32 v249, v49, v156
	s_waitcnt vmcnt(2) lgkmcnt(4)
	v_mul_f32_e32 v104, v36, v183
	v_fmac_f32_e32 v104, v37, v182
	s_waitcnt vmcnt(0)
	v_mul_f32_e32 v10, v59, v197
	v_fma_f32 v112, v58, v196, -v10
	v_mul_f32_e32 v10, v45, v199
	v_fma_f32 v114, v44, v198, -v10
	v_mul_f32_e32 v10, v55, v189
	v_fma_f32 v98, v54, v188, -v10
	v_mul_f32_e32 v10, v41, v191
	v_fma_f32 v88, v40, v190, -v10
	v_mul_f32_e32 v10, v51, v181
	v_fma_f32 v101, v50, v180, -v10
	v_mul_f32_e32 v10, v37, v183
	v_fma_f32 v103, v36, v182, -v10
	v_mul_u32_u24_sdwa v10, v200, s8 dst_sel:DWORD dst_unused:UNUSED_PAD src0_sel:WORD_0 src1_sel:DWORD
	v_sub_u16_sdwa v11, v200, v10 dst_sel:DWORD dst_unused:UNUSED_PAD src0_sel:DWORD src1_sel:WORD_1
	v_lshrrev_b16_e32 v11, 1, v11
	v_add_u16_sdwa v10, v11, v10 dst_sel:DWORD dst_unused:UNUSED_PAD src0_sel:DWORD src1_sel:WORD_1
	v_lshrrev_b16_e32 v10, 5, v10
	v_mul_lo_u16_e32 v10, 49, v10
	v_sub_u16_e32 v10, v200, v10
	buffer_store_dword v10, off, s[20:23], 0 offset:412 ; 4-byte Folded Spill
	v_mul_lo_u16_e32 v10, 48, v10
	v_add_co_u32_e32 v10, vcc, s10, v10
	v_mov_b32_e32 v36, s11
	v_addc_co_u32_e32 v11, vcc, 0, v36, vcc
	global_load_dwordx4 v[200:203], v[10:11], off offset:368
	global_load_dwordx4 v[204:207], v[10:11], off offset:352
	;; [unrolled: 1-line block ×3, first 2 shown]
	v_mul_f32_e32 v100, v40, v191
	v_fmac_f32_e32 v100, v41, v190
	v_mul_f32_e32 v102, v50, v181
	v_fmac_f32_e32 v102, v51, v180
	;; [unrolled: 2-line block ×3, first 2 shown]
	v_mul_f32_e32 v85, v58, v197
	v_mul_f32_e32 v87, v54, v189
	v_fmac_f32_e32 v85, v59, v196
	v_fmac_f32_e32 v87, v55, v188
	s_waitcnt vmcnt(2)
	v_mul_f32_e32 v119, v38, v203
	v_fmac_f32_e32 v119, v39, v202
	s_waitcnt vmcnt(0) lgkmcnt(3)
	v_mul_f32_e32 v10, v33, v209
	v_fma_f32 v246, v32, v208, -v10
	v_mul_f32_e32 v10, v47, v211
	v_fma_f32 v244, v46, v210, -v10
	s_waitcnt lgkmcnt(2)
	v_mul_f32_e32 v10, v29, v205
	v_fma_f32 v248, v28, v204, -v10
	v_mul_f32_e32 v10, v43, v207
	v_fma_f32 v242, v42, v206, -v10
	s_waitcnt lgkmcnt(1)
	v_mul_f32_e32 v10, v21, v201
	v_fma_f32 v116, v20, v200, -v10
	v_mul_f32_e32 v10, v39, v203
	v_fma_f32 v118, v38, v202, -v10
	v_mul_u32_u24_sdwa v10, v212, s8 dst_sel:DWORD dst_unused:UNUSED_PAD src0_sel:WORD_0 src1_sel:DWORD
	v_sub_u16_sdwa v11, v212, v10 dst_sel:DWORD dst_unused:UNUSED_PAD src0_sel:DWORD src1_sel:WORD_1
	v_lshrrev_b16_e32 v11, 1, v11
	v_add_u16_sdwa v10, v11, v10 dst_sel:DWORD dst_unused:UNUSED_PAD src0_sel:DWORD src1_sel:WORD_1
	v_lshrrev_b16_e32 v10, 5, v10
	v_mul_lo_u16_e32 v10, 49, v10
	v_sub_u16_e32 v10, v212, v10
	buffer_store_dword v10, off, s[20:23], 0 offset:424 ; 4-byte Folded Spill
	v_mul_lo_u16_e32 v10, 48, v10
	v_add_co_u32_e32 v10, vcc, s10, v10
	v_addc_co_u32_e32 v11, vcc, 0, v36, vcc
	global_load_dwordx4 v[36:39], v[10:11], off offset:368
	global_load_dwordx4 v[212:215], v[10:11], off offset:352
	;; [unrolled: 1-line block ×3, first 2 shown]
	v_mul_f32_e32 v117, v20, v201
	v_add_f32_e32 v11, v96, v0
	v_add_f32_e32 v20, v97, v109
	v_mul_f32_e32 v99, v32, v209
	v_mul_f32_e32 v69, v28, v205
	v_fmac_f32_e32 v117, v21, v200
	v_add_f32_e32 v21, v108, v110
	v_fmac_f32_e32 v99, v33, v208
	v_fmac_f32_e32 v69, v29, v204
	v_sub_f32_e32 v0, v96, v0
	v_mul_f32_e32 v115, v42, v207
	v_fmac_f32_e32 v115, v43, v206
	v_mul_f32_e32 v113, v46, v211
	v_fmac_f32_e32 v113, v47, v210
	s_waitcnt vmcnt(1)
	v_mul_f32_e32 v243, v16, v215
	s_waitcnt vmcnt(0)
	v_mul_f32_e32 v10, v35, v217
	v_fma_f32 v95, v34, v216, -v10
	v_mul_f32_e32 v10, v25, v219
	v_fma_f32 v10, v24, v218, -v10
	buffer_store_dword v10, off, s[20:23], 0 offset:420 ; 4-byte Folded Spill
	v_mul_f32_e32 v10, v31, v213
	v_fma_f32 v10, v30, v212, -v10
	buffer_store_dword v10, off, s[20:23], 0 offset:428 ; 4-byte Folded Spill
	;; [unrolled: 3-line block ×3, first 2 shown]
	buffer_store_dword v36, off, s[20:23], 0 offset:948 ; 4-byte Folded Spill
	s_nop 0
	buffer_store_dword v37, off, s[20:23], 0 offset:952 ; 4-byte Folded Spill
	buffer_store_dword v38, off, s[20:23], 0 offset:956 ; 4-byte Folded Spill
	buffer_store_dword v39, off, s[20:23], 0 offset:960 ; 4-byte Folded Spill
	v_add_f32_e32 v16, v111, v26
	v_mul_f32_e32 v77, v24, v219
	v_fmac_f32_e32 v243, v17, v214
	v_add_f32_e32 v17, v90, v1
	v_fmac_f32_e32 v77, v25, v218
	v_mul_f32_e32 v79, v30, v213
	v_add_f32_e32 v25, v17, v11
	v_fmac_f32_e32 v79, v31, v212
	v_sub_f32_e32 v1, v90, v1
	v_sub_f32_e32 v28, v17, v11
	;; [unrolled: 1-line block ×4, first 2 shown]
	v_add_f32_e32 v21, v21, v25
	v_mul_f32_e32 v71, v34, v217
	v_mul_f32_e32 v11, 0x3f4a47b2, v11
	v_fmac_f32_e32 v71, v35, v216
	v_mul_f32_e32 v10, v23, v37
	v_fma_f32 v10, v22, v36, -v10
	buffer_store_dword v10, off, s[20:23], 0 offset:448 ; 4-byte Folded Spill
	s_waitcnt lgkmcnt(0)
	v_mul_f32_e32 v10, v63, v39
	v_fma_f32 v10, v62, v38, -v10
	buffer_store_dword v10, off, s[20:23], 0 offset:464 ; 4-byte Folded Spill
	v_add_f32_e32 v10, v9, v18
	v_add_f32_e32 v24, v16, v10
	v_mul_f32_e32 v245, v22, v37
	v_sub_f32_e32 v9, v9, v18
	v_sub_f32_e32 v18, v111, v26
	;; [unrolled: 1-line block ×6, first 2 shown]
	v_add_f32_e32 v20, v20, v24
	v_fmac_f32_e32 v245, v23, v36
	v_sub_f32_e32 v23, v110, v108
	v_add_f32_e32 v29, v22, v18
	v_sub_f32_e32 v31, v22, v18
	v_sub_f32_e32 v33, v9, v22
	v_add_f32_e32 v22, v20, v12
	v_add_f32_e32 v30, v23, v1
	v_sub_f32_e32 v32, v23, v1
	v_sub_f32_e32 v34, v0, v23
	v_add_f32_e32 v23, v21, v13
	v_mov_b32_e32 v24, v22
	v_sub_f32_e32 v18, v18, v9
	v_sub_f32_e32 v1, v1, v0
	v_add_f32_e32 v0, v30, v0
	v_mul_f32_e32 v10, 0x3f4a47b2, v10
	v_mul_f32_e32 v30, 0xbf08b237, v32
	v_fmac_f32_e32 v24, 0xbf955555, v20
	v_mov_b32_e32 v20, v23
	v_add_f32_e32 v9, v29, v9
	v_mul_f32_e32 v12, 0x3d64c772, v16
	v_mul_f32_e32 v13, 0x3d64c772, v17
	v_mul_f32_e32 v29, 0xbf08b237, v31
	v_mul_f32_e32 v31, 0xbf5ff5aa, v18
	v_mul_f32_e32 v32, 0xbf5ff5aa, v1
	v_fmac_f32_e32 v20, 0xbf955555, v21
	v_fma_f32 v21, v26, s4, -v10
	v_fmac_f32_e32 v10, 0x3d64c772, v16
	v_fma_f32 v1, v1, s5, -v30
	v_fmac_f32_e32 v30, 0x3eae86e6, v34
	v_fma_f32 v12, v26, s3, -v12
	v_fma_f32 v13, v28, s3, -v13
	v_fma_f32 v16, v28, s4, -v11
	v_fmac_f32_e32 v11, 0x3d64c772, v17
	v_fma_f32 v17, v18, s5, -v29
	v_fmac_f32_e32 v29, 0x3eae86e6, v33
	v_fmac_f32_e32 v31, 0xbeae86e6, v33
	;; [unrolled: 1-line block ×3, first 2 shown]
	v_add_f32_e32 v10, v10, v24
	v_fmac_f32_e32 v30, 0x3ee1c552, v0
	v_add_f32_e32 v11, v11, v20
	v_add_f32_e32 v12, v12, v24
	;; [unrolled: 1-line block ×5, first 2 shown]
	v_fmac_f32_e32 v29, 0x3ee1c552, v9
	v_fmac_f32_e32 v17, 0x3ee1c552, v9
	;; [unrolled: 1-line block ×5, first 2 shown]
	v_add_f32_e32 v24, v30, v10
	v_sub_f32_e32 v108, v10, v30
	v_add_f32_e32 v0, v70, v19
	v_add_f32_e32 v10, v67, v64
	v_sub_f32_e32 v25, v11, v29
	v_sub_f32_e32 v97, v26, v31
	;; [unrolled: 1-line block ×3, first 2 shown]
	v_add_f32_e32 v21, v17, v13
	v_add_f32_e32 v12, v1, v12
	v_sub_f32_e32 v13, v13, v17
	v_add_f32_e32 v17, v31, v26
	v_add_f32_e32 v109, v29, v11
	v_add_f32_e32 v1, v27, v2
	v_sub_f32_e32 v9, v70, v19
	v_add_f32_e32 v11, v74, v3
	;; [unrolled: 4-line block ×3, first 2 shown]
	v_add_f32_e32 v28, v11, v1
	v_add_f32_e32 v5, v19, v5
	v_sub_f32_e32 v3, v74, v3
	v_sub_f32_e32 v29, v10, v0
	;; [unrolled: 1-line block ×4, first 2 shown]
	v_add_f32_e32 v19, v26, v28
	v_add_f32_e32 v42, v5, v14
	;; [unrolled: 1-line block ×3, first 2 shown]
	v_sub_f32_e32 v16, v18, v32
	v_sub_f32_e32 v2, v27, v2
	;; [unrolled: 1-line block ×5, first 2 shown]
	v_add_f32_e32 v43, v19, v15
	v_mov_b32_e32 v28, v42
	v_mul_f32_e32 v247, v62, v39
	v_sub_f32_e32 v30, v11, v1
	v_sub_f32_e32 v1, v1, v26
	;; [unrolled: 1-line block ×3, first 2 shown]
	v_add_f32_e32 v31, v27, v18
	v_add_f32_e32 v32, v4, v3
	v_sub_f32_e32 v33, v27, v18
	v_sub_f32_e32 v4, v2, v4
	;; [unrolled: 1-line block ×4, first 2 shown]
	v_mul_f32_e32 v0, 0x3f4a47b2, v0
	v_mul_f32_e32 v14, 0x3d64c772, v10
	;; [unrolled: 1-line block ×3, first 2 shown]
	v_fmac_f32_e32 v28, 0xbf955555, v5
	v_mov_b32_e32 v5, v43
	v_fmac_f32_e32 v247, v63, v38
	v_sub_f32_e32 v27, v9, v27
	v_add_f32_e32 v2, v32, v2
	v_mul_f32_e32 v1, 0x3f4a47b2, v1
	v_mul_f32_e32 v15, 0x3d64c772, v11
	;; [unrolled: 1-line block ×5, first 2 shown]
	v_fmac_f32_e32 v5, 0xbf955555, v19
	v_fma_f32 v14, v29, s3, -v14
	v_fma_f32 v19, v29, s4, -v0
	v_fmac_f32_e32 v0, 0x3d64c772, v10
	v_fma_f32 v3, v3, s5, -v26
	v_fmac_f32_e32 v26, 0x3eae86e6, v4
	v_add_f32_e32 v9, v31, v9
	v_fma_f32 v15, v30, s3, -v15
	v_fma_f32 v10, v30, s4, -v1
	v_fmac_f32_e32 v1, 0x3d64c772, v11
	v_fma_f32 v11, v18, s5, -v36
	v_fmac_f32_e32 v36, 0x3eae86e6, v27
	v_fmac_f32_e32 v37, 0xbeae86e6, v27
	;; [unrolled: 1-line block ×3, first 2 shown]
	v_add_f32_e32 v0, v0, v28
	v_add_f32_e32 v4, v14, v28
	v_fmac_f32_e32 v26, 0x3ee1c552, v2
	v_fmac_f32_e32 v3, 0x3ee1c552, v2
	v_add_f32_e32 v1, v1, v5
	v_add_f32_e32 v14, v15, v5
	;; [unrolled: 1-line block ×4, first 2 shown]
	v_fmac_f32_e32 v36, 0x3ee1c552, v9
	v_fmac_f32_e32 v11, 0x3ee1c552, v9
	;; [unrolled: 1-line block ×4, first 2 shown]
	v_add_f32_e32 v32, v26, v0
	v_sub_f32_e32 v28, v4, v3
	v_add_f32_e32 v30, v3, v4
	v_sub_f32_e32 v26, v0, v26
	v_add_f32_e32 v0, v254, v76
	v_add_f32_e32 v4, v252, v78
	v_sub_f32_e32 v33, v1, v36
	v_add_f32_e32 v34, v38, v15
	v_sub_f32_e32 v35, v5, v37
	;; [unrolled: 2-line block ×3, first 2 shown]
	v_sub_f32_e32 v14, v15, v38
	v_add_f32_e32 v15, v37, v5
	v_add_f32_e32 v27, v36, v1
	;; [unrolled: 1-line block ×6, first 2 shown]
	v_sub_f32_e32 v3, v255, v6
	v_sub_f32_e32 v6, v252, v78
	;; [unrolled: 1-line block ×3, first 2 shown]
	v_add_f32_e32 v10, v89, v8
	v_sub_f32_e32 v11, v84, v86
	v_sub_f32_e32 v8, v8, v89
	v_add_f32_e32 v19, v5, v1
	v_sub_f32_e32 v36, v4, v0
	v_sub_f32_e32 v0, v0, v9
	;; [unrolled: 1-line block ×3, first 2 shown]
	v_add_f32_e32 v9, v9, v18
	v_sub_f32_e32 v2, v254, v76
	v_sub_f32_e32 v37, v5, v1
	;; [unrolled: 1-line block ×4, first 2 shown]
	v_add_f32_e32 v39, v8, v7
	v_sub_f32_e32 v40, v11, v6
	v_add_f32_e32 v10, v10, v19
	v_add_f32_e32 v46, v9, v80
	;; [unrolled: 1-line block ×3, first 2 shown]
	v_sub_f32_e32 v41, v8, v7
	v_sub_f32_e32 v8, v3, v8
	;; [unrolled: 1-line block ×4, first 2 shown]
	v_add_f32_e32 v3, v39, v3
	v_add_f32_e32 v47, v10, v81
	v_mul_f32_e32 v39, 0xbf08b237, v40
	v_mov_b32_e32 v40, v46
	v_sub_f32_e32 v11, v2, v11
	v_add_f32_e32 v2, v38, v2
	v_mul_f32_e32 v0, 0x3f4a47b2, v0
	v_mul_f32_e32 v1, 0x3f4a47b2, v1
	;; [unrolled: 1-line block ×6, first 2 shown]
	v_fmac_f32_e32 v40, 0xbf955555, v9
	v_mov_b32_e32 v9, v47
	v_fmac_f32_e32 v9, 0xbf955555, v10
	v_fma_f32 v10, v36, s3, -v18
	v_fma_f32 v18, v37, s3, -v19
	;; [unrolled: 1-line block ×3, first 2 shown]
	v_fmac_f32_e32 v0, 0x3d64c772, v4
	v_fma_f32 v4, v37, s4, -v1
	v_fmac_f32_e32 v1, 0x3d64c772, v5
	v_fma_f32 v5, v6, s5, -v39
	v_fma_f32 v6, v7, s5, -v38
	v_fmac_f32_e32 v38, 0x3eae86e6, v8
	v_fmac_f32_e32 v50, 0xbeae86e6, v11
	v_mul_f32_e32 v51, 0xbf5ff5aa, v7
	v_fmac_f32_e32 v39, 0x3eae86e6, v11
	v_add_f32_e32 v0, v0, v40
	v_add_f32_e32 v4, v4, v9
	v_fmac_f32_e32 v38, 0x3ee1c552, v3
	v_fmac_f32_e32 v50, 0x3ee1c552, v2
	;; [unrolled: 1-line block ×3, first 2 shown]
	v_add_f32_e32 v1, v1, v9
	v_add_f32_e32 v7, v10, v40
	;; [unrolled: 1-line block ×3, first 2 shown]
	v_fmac_f32_e32 v39, 0x3ee1c552, v2
	v_fmac_f32_e32 v5, 0x3ee1c552, v2
	v_add_f32_e32 v48, v38, v0
	v_sub_f32_e32 v41, v4, v50
	v_add_f32_e32 v37, v50, v4
	v_sub_f32_e32 v38, v0, v38
	v_add_f32_e32 v0, v105, v250
	v_add_f32_e32 v4, v57, v241
	;; [unrolled: 1-line block ×3, first 2 shown]
	v_fmac_f32_e32 v6, 0x3ee1c552, v3
	v_fmac_f32_e32 v51, 0x3ee1c552, v3
	v_sub_f32_e32 v49, v1, v39
	v_add_f32_e32 v45, v5, v10
	v_sub_f32_e32 v9, v10, v5
	v_add_f32_e32 v39, v39, v1
	v_add_f32_e32 v1, v106, v251
	;; [unrolled: 1-line block ×6, first 2 shown]
	v_sub_f32_e32 v44, v7, v6
	v_add_f32_e32 v8, v6, v7
	v_sub_f32_e32 v36, v11, v51
	v_sub_f32_e32 v6, v57, v241
	v_add_f32_e32 v11, v52, v240
	v_sub_f32_e32 v18, v53, v56
	;; [unrolled: 3-line block ×3, first 2 shown]
	v_sub_f32_e32 v0, v0, v10
	v_sub_f32_e32 v4, v10, v4
	v_add_f32_e32 v10, v10, v50
	v_sub_f32_e32 v2, v105, v250
	v_sub_f32_e32 v7, v107, v249
	;; [unrolled: 1-line block ×5, first 2 shown]
	v_add_f32_e32 v54, v18, v6
	v_add_f32_e32 v11, v11, v51
	;; [unrolled: 1-line block ×3, first 2 shown]
	v_sub_f32_e32 v3, v106, v251
	v_sub_f32_e32 v56, v18, v6
	v_sub_f32_e32 v57, v19, v7
	v_sub_f32_e32 v18, v2, v18
	v_sub_f32_e32 v6, v6, v2
	v_add_f32_e32 v2, v54, v2
	v_add_f32_e32 v59, v11, v83
	v_mov_b32_e32 v54, v58
	v_add_f32_e32 v55, v19, v7
	v_sub_f32_e32 v19, v3, v19
	v_sub_f32_e32 v7, v7, v3
	v_mul_f32_e32 v0, 0x3f4a47b2, v0
	v_mul_f32_e32 v1, 0x3f4a47b2, v1
	;; [unrolled: 1-line block ×7, first 2 shown]
	v_fmac_f32_e32 v54, 0xbf955555, v10
	v_mov_b32_e32 v10, v59
	v_add_f32_e32 v3, v55, v3
	v_mul_f32_e32 v70, 0xbf5ff5aa, v7
	v_fmac_f32_e32 v10, 0xbf955555, v11
	v_fma_f32 v11, v52, s3, -v50
	v_fma_f32 v50, v53, s3, -v51
	;; [unrolled: 1-line block ×3, first 2 shown]
	v_fmac_f32_e32 v0, 0x3d64c772, v4
	v_fma_f32 v4, v53, s4, -v1
	v_fmac_f32_e32 v1, 0x3d64c772, v5
	v_fma_f32 v5, v6, s5, -v64
	v_fma_f32 v6, v7, s5, -v67
	v_fmac_f32_e32 v67, 0x3eae86e6, v19
	v_fmac_f32_e32 v68, 0xbeae86e6, v18
	;; [unrolled: 1-line block ×4, first 2 shown]
	v_add_f32_e32 v0, v0, v54
	v_add_f32_e32 v4, v4, v10
	v_fmac_f32_e32 v67, 0x3ee1c552, v3
	v_fmac_f32_e32 v68, 0x3ee1c552, v2
	v_add_f32_e32 v1, v1, v10
	v_add_f32_e32 v7, v11, v54
	;; [unrolled: 1-line block ×4, first 2 shown]
	v_fmac_f32_e32 v64, 0x3ee1c552, v2
	v_fmac_f32_e32 v5, 0x3ee1c552, v2
	v_fmac_f32_e32 v70, 0x3ee1c552, v3
	v_add_f32_e32 v62, v67, v0
	v_sub_f32_e32 v55, v4, v68
	v_add_f32_e32 v51, v68, v4
	v_sub_f32_e32 v52, v0, v67
	v_add_f32_e32 v0, v112, v103
	v_add_f32_e32 v4, v114, v101
	v_sub_f32_e32 v63, v1, v64
	v_add_f32_e32 v54, v70, v18
	v_add_f32_e32 v57, v5, v11
	v_sub_f32_e32 v11, v11, v5
	v_sub_f32_e32 v50, v18, v70
	v_add_f32_e32 v53, v64, v1
	v_add_f32_e32 v1, v85, v104
	;; [unrolled: 1-line block ×5, first 2 shown]
	v_fmac_f32_e32 v6, 0x3ee1c552, v3
	v_add_f32_e32 v19, v87, v100
	v_add_f32_e32 v68, v5, v1
	v_sub_f32_e32 v70, v4, v0
	v_sub_f32_e32 v0, v0, v18
	;; [unrolled: 1-line block ×3, first 2 shown]
	v_add_f32_e32 v18, v18, v67
	v_sub_f32_e32 v56, v7, v6
	v_add_f32_e32 v10, v6, v7
	v_sub_f32_e32 v3, v85, v104
	v_sub_f32_e32 v6, v114, v101
	;; [unrolled: 1-line block ×8, first 2 shown]
	v_add_f32_e32 v19, v19, v68
	v_add_f32_e32 v104, v18, v91
	v_sub_f32_e32 v2, v112, v103
	v_add_f32_e32 v75, v64, v6
	v_add_f32_e32 v76, v65, v7
	v_sub_f32_e32 v78, v64, v6
	v_sub_f32_e32 v80, v65, v7
	v_add_f32_e32 v105, v19, v92
	v_mov_b32_e32 v81, v104
	v_sub_f32_e32 v64, v2, v64
	v_sub_f32_e32 v65, v3, v65
	v_sub_f32_e32 v6, v6, v2
	v_sub_f32_e32 v7, v7, v3
	v_add_f32_e32 v2, v75, v2
	v_add_f32_e32 v3, v76, v3
	v_mul_f32_e32 v0, 0x3f4a47b2, v0
	v_mul_f32_e32 v1, 0x3f4a47b2, v1
	;; [unrolled: 1-line block ×6, first 2 shown]
	v_fmac_f32_e32 v81, 0xbf955555, v18
	v_mov_b32_e32 v18, v105
	v_mul_f32_e32 v78, 0xbf5ff5aa, v6
	v_fmac_f32_e32 v18, 0xbf955555, v19
	v_fma_f32 v19, v70, s3, -v67
	v_fma_f32 v67, v74, s3, -v68
	;; [unrolled: 1-line block ×3, first 2 shown]
	v_fmac_f32_e32 v0, 0x3d64c772, v4
	v_fma_f32 v4, v74, s4, -v1
	v_fmac_f32_e32 v1, 0x3d64c772, v5
	v_fma_f32 v5, v6, s5, -v75
	v_fma_f32 v6, v7, s5, -v76
	v_fmac_f32_e32 v76, 0x3eae86e6, v65
	v_mul_f32_e32 v80, 0xbf5ff5aa, v7
	v_fmac_f32_e32 v75, 0x3eae86e6, v64
	v_add_f32_e32 v0, v0, v81
	v_add_f32_e32 v7, v19, v81
	v_fmac_f32_e32 v76, 0x3ee1c552, v3
	v_fmac_f32_e32 v6, 0x3ee1c552, v3
	v_add_f32_e32 v1, v1, v18
	v_add_f32_e32 v19, v67, v18
	;; [unrolled: 1-line block ×3, first 2 shown]
	v_fmac_f32_e32 v75, 0x3ee1c552, v2
	v_add_f32_e32 v106, v76, v0
	v_sub_f32_e32 v86, v7, v6
	v_add_f32_e32 v4, v6, v7
	v_sub_f32_e32 v88, v0, v76
	v_add_f32_e32 v0, v246, v118
	v_add_f32_e32 v6, v244, v116
	v_fmac_f32_e32 v78, 0xbeae86e6, v64
	v_sub_f32_e32 v107, v1, v75
	v_add_f32_e32 v89, v75, v1
	v_add_f32_e32 v1, v99, v119
	;; [unrolled: 1-line block ×5, first 2 shown]
	v_fmac_f32_e32 v80, 0xbeae86e6, v65
	v_add_f32_e32 v64, v68, v81
	v_fmac_f32_e32 v78, 0x3ee1c552, v2
	v_add_f32_e32 v68, v69, v115
	v_add_f32_e32 v75, v7, v1
	v_sub_f32_e32 v76, v6, v0
	v_sub_f32_e32 v0, v0, v67
	;; [unrolled: 1-line block ×3, first 2 shown]
	v_add_f32_e32 v67, v67, v74
	v_fmac_f32_e32 v5, 0x3ee1c552, v2
	v_fmac_f32_e32 v80, 0x3ee1c552, v3
	v_sub_f32_e32 v85, v18, v78
	v_add_f32_e32 v65, v78, v18
	v_sub_f32_e32 v2, v246, v118
	v_sub_f32_e32 v18, v244, v116
	;; [unrolled: 1-line block ×6, first 2 shown]
	v_add_f32_e32 v68, v68, v75
	v_add_f32_e32 v240, v67, v93
	;; [unrolled: 1-line block ×3, first 2 shown]
	v_sub_f32_e32 v64, v64, v80
	v_add_f32_e32 v80, v70, v18
	v_sub_f32_e32 v82, v70, v18
	v_sub_f32_e32 v18, v18, v2
	v_add_f32_e32 v241, v68, v94
	v_mov_b32_e32 v90, v240
	v_sub_f32_e32 v70, v2, v70
	v_add_f32_e32 v2, v80, v2
	v_mul_f32_e32 v0, 0x3f4a47b2, v0
	v_mul_f32_e32 v1, 0x3f4a47b2, v1
	;; [unrolled: 1-line block ×6, first 2 shown]
	v_fmac_f32_e32 v90, 0xbf955555, v67
	v_mov_b32_e32 v67, v241
	v_fmac_f32_e32 v67, 0xbf955555, v68
	v_fma_f32 v68, v76, s3, -v74
	v_fma_f32 v74, v78, s3, -v75
	;; [unrolled: 1-line block ×3, first 2 shown]
	v_fmac_f32_e32 v0, 0x3d64c772, v6
	v_fma_f32 v6, v78, s4, -v1
	v_fmac_f32_e32 v1, 0x3d64c772, v7
	v_fma_f32 v7, v18, s5, -v80
	v_fmac_f32_e32 v82, 0xbeae86e6, v70
	v_fmac_f32_e32 v80, 0x3eae86e6, v70
	v_add_f32_e32 v1, v1, v67
	v_add_f32_e32 v70, v74, v67
	v_add_f32_e32 v67, v6, v67
	v_fmac_f32_e32 v7, 0x3ee1c552, v2
	v_fmac_f32_e32 v82, 0x3ee1c552, v2
	v_add_f32_e32 v87, v5, v19
	v_sub_f32_e32 v5, v19, v5
	v_sub_f32_e32 v3, v99, v119
	;; [unrolled: 1-line block ×3, first 2 shown]
	v_fmac_f32_e32 v80, 0x3ee1c552, v2
	v_sub_f32_e32 v117, v67, v82
	v_add_f32_e32 v119, v7, v70
	v_sub_f32_e32 v7, v70, v7
	v_add_f32_e32 v113, v82, v67
	buffer_load_dword v2, off, s[20:23], 0 offset:464 ; 4-byte Folded Reload
	buffer_load_dword v67, off, s[20:23], 0 offset:420 ; 4-byte Folded Reload
	buffer_load_dword v70, off, s[20:23], 0 offset:448 ; 4-byte Folded Reload
	v_add_f32_e32 v74, v75, v90
	buffer_load_dword v75, off, s[20:23], 0 offset:428 ; 4-byte Folded Reload
	buffer_load_dword v76, off, s[20:23], 0 offset:432 ; 4-byte Folded Reload
	v_sub_f32_e32 v69, v115, v69
	v_add_f32_e32 v81, v69, v19
	v_sub_f32_e32 v83, v69, v19
	v_sub_f32_e32 v69, v3, v69
	;; [unrolled: 1-line block ×3, first 2 shown]
	v_add_f32_e32 v3, v81, v3
	v_mul_f32_e32 v81, 0xbf08b237, v83
	v_fma_f32 v18, v19, s5, -v81
	v_fmac_f32_e32 v81, 0x3eae86e6, v69
	v_mul_f32_e32 v83, 0xbf5ff5aa, v19
	v_add_f32_e32 v0, v0, v90
	v_add_f32_e32 v19, v68, v90
	v_fmac_f32_e32 v81, 0x3ee1c552, v3
	v_fmac_f32_e32 v18, 0x3ee1c552, v3
	;; [unrolled: 1-line block ×3, first 2 shown]
	v_add_f32_e32 v68, v81, v0
	v_sub_f32_e32 v118, v19, v18
	v_add_f32_e32 v6, v18, v19
	v_sub_f32_e32 v114, v0, v81
	v_fmac_f32_e32 v83, 0x3ee1c552, v3
	v_sub_f32_e32 v69, v1, v80
	v_add_f32_e32 v115, v80, v1
	v_add_f32_e32 v1, v71, v247
	v_sub_f32_e32 v3, v71, v247
	v_add_f32_e32 v19, v77, v245
	v_add_f32_e32 v116, v83, v74
	;; [unrolled: 3-line block ×3, first 2 shown]
	v_sub_f32_e32 v80, v19, v1
	v_sub_f32_e32 v1, v1, v74
	;; [unrolled: 1-line block ×3, first 2 shown]
	v_add_f32_e32 v74, v74, v78
	v_mul_f32_e32 v1, 0x3f4a47b2, v1
	s_waitcnt lgkmcnt(0)
	; wave barrier
	ds_write2_b64 v66, v[22:23], v[24:25] offset1:49
	ds_write2_b64 v66, v[96:97], v[20:21] offset0:98 offset1:147
	ds_write2_b64 v66, v[12:13], v[16:17] offset0:196 offset1:245
	v_add_u32_e32 v12, 0xc00, v66
	v_add_u32_e32 v13, 0x1000, v66
	s_waitcnt vmcnt(4)
	v_add_f32_e32 v0, v95, v2
	s_waitcnt vmcnt(2)
	v_add_f32_e32 v18, v67, v70
	v_sub_f32_e32 v67, v67, v70
	v_sub_f32_e32 v70, v77, v245
	s_waitcnt vmcnt(0)
	v_add_f32_e32 v71, v75, v76
	v_add_f32_e32 v77, v18, v0
	v_sub_f32_e32 v75, v76, v75
	v_sub_f32_e32 v76, v243, v79
	;; [unrolled: 1-line block ×5, first 2 shown]
	v_add_f32_e32 v71, v71, v77
	v_sub_f32_e32 v2, v95, v2
	v_add_f32_e32 v244, v71, v72
	v_add_f32_e32 v81, v75, v67
	v_sub_f32_e32 v83, v75, v67
	v_sub_f32_e32 v67, v67, v2
	v_add_f32_e32 v245, v74, v73
	v_mov_b32_e32 v77, v244
	v_sub_f32_e32 v75, v2, v75
	v_add_f32_e32 v2, v81, v2
	v_mul_f32_e32 v0, 0x3f4a47b2, v0
	v_mul_f32_e32 v81, 0xbf08b237, v83
	;; [unrolled: 1-line block ×3, first 2 shown]
	v_fmac_f32_e32 v77, 0xbf955555, v71
	v_mov_b32_e32 v71, v245
	v_add_u32_e32 v95, 0x800, v66
	v_mul_f32_e32 v72, 0x3d64c772, v18
	v_mul_f32_e32 v73, 0x3d64c772, v19
	v_fmac_f32_e32 v71, 0xbf955555, v74
	v_fma_f32 v74, v79, s4, -v0
	v_fmac_f32_e32 v0, 0x3d64c772, v18
	v_fma_f32 v18, v80, s4, -v1
	;; [unrolled: 2-line block ×3, first 2 shown]
	v_fmac_f32_e32 v81, 0x3eae86e6, v75
	v_fmac_f32_e32 v83, 0xbeae86e6, v75
	ds_write2_b64 v95, v[108:109], v[42:43] offset0:38 offset1:87
	ds_write2_b64 v95, v[32:33], v[34:35] offset0:136 offset1:185
	v_fmac_f32_e32 v81, 0x3ee1c552, v2
	v_fmac_f32_e32 v19, 0x3ee1c552, v2
	;; [unrolled: 1-line block ×3, first 2 shown]
	buffer_load_dword v2, off, s[20:23], 0 offset:416 ; 4-byte Folded Reload
	v_add_f32_e32 v82, v76, v70
	v_sub_f32_e32 v90, v76, v70
	v_sub_f32_e32 v70, v70, v3
	;; [unrolled: 1-line block ×3, first 2 shown]
	v_add_f32_e32 v3, v82, v3
	v_mul_f32_e32 v82, 0xbf08b237, v90
	v_mul_f32_e32 v90, 0xbf5ff5aa, v70
	v_fma_f32 v67, v70, s5, -v82
	v_fmac_f32_e32 v82, 0x3eae86e6, v76
	v_fmac_f32_e32 v90, 0xbeae86e6, v76
	;; [unrolled: 1-line block ×5, first 2 shown]
	ds_write2_b64 v12, v[28:29], v[30:31] offset0:106 offset1:155
	ds_write2_b64 v13, v[14:15], v[26:27] offset0:76 offset1:125
	v_fma_f32 v72, v79, s3, -v72
	v_fma_f32 v73, v80, s3, -v73
	v_add_f32_e32 v0, v0, v77
	v_add_f32_e32 v1, v1, v71
	;; [unrolled: 1-line block ×7, first 2 shown]
	v_sub_f32_e32 v247, v1, v81
	v_add_f32_e32 v76, v90, v73
	v_sub_f32_e32 v77, v18, v83
	v_sub_f32_e32 v78, v70, v67
	v_add_f32_e32 v79, v19, v72
	v_sub_f32_e32 v242, v73, v90
	v_add_f32_e32 v243, v83, v18
	;; [unrolled: 2-line block ×3, first 2 shown]
	v_add_f32_e32 v70, v67, v70
	v_sub_f32_e32 v71, v72, v19
	v_mov_b32_e32 v14, v13
	s_waitcnt vmcnt(0)
	v_lshlrev_b32_e32 v2, 3, v2
	v_add_u32_e32 v3, 0x1000, v2
	buffer_store_dword v3, off, s[20:23], 0 offset:488 ; 4-byte Folded Spill
	buffer_store_dword v2, off, s[20:23], 0 offset:492 ; 4-byte Folded Spill
	ds_write2_b64 v3, v[46:47], v[48:49] offset0:174 offset1:223
	v_add_u32_e32 v3, 0x1800, v2
	ds_write2_b64 v3, v[40:41], v[44:45] offset0:16 offset1:65
	buffer_store_dword v3, off, s[20:23], 0 offset:496 ; 4-byte Folded Spill
	ds_write2_b64 v3, v[8:9], v[36:37] offset0:114 offset1:163
	ds_write_b64 v2, v[38:39] offset:7840
	buffer_load_dword v2, off, s[20:23], 0 offset:408 ; 4-byte Folded Reload
	v_add_u32_e32 v9, 0x3000, v66
	v_add_u32_e32 v8, 0x4000, v66
	s_waitcnt vmcnt(0)
	v_lshlrev_b32_e32 v2, 3, v2
	v_add_u32_e32 v3, 0x2000, v2
	buffer_store_dword v2, off, s[20:23], 0 offset:484 ; 4-byte Folded Spill
	ds_write2_b64 v3, v[58:59], v[62:63] offset0:5 offset1:54
	buffer_store_dword v3, off, s[20:23], 0 offset:564 ; 4-byte Folded Spill
	ds_write2_b64 v3, v[54:55], v[56:57] offset0:103 offset1:152
	ds_write2_b64 v3, v[10:11], v[50:51] offset0:201 offset1:250
	ds_write_b64 v2, v[52:53] offset:10584
	buffer_load_dword v2, off, s[20:23], 0 offset:404 ; 4-byte Folded Reload
	v_add_u32_e32 v10, 0x2800, v66
	v_add_u32_e32 v11, 0x3400, v66
	s_waitcnt vmcnt(0)
	v_lshlrev_b32_e32 v2, 3, v2
	v_add_u32_e32 v3, 0x2800, v2
	ds_write2_b64 v3, v[104:105], v[106:107] offset0:92 offset1:141
	buffer_store_dword v3, off, s[20:23], 0 offset:480 ; 4-byte Folded Spill
	ds_write2_b64 v3, v[84:85], v[86:87] offset0:190 offset1:239
	v_add_u32_e32 v3, 0x3000, v2
	buffer_store_dword v2, off, s[20:23], 0 offset:404 ; 4-byte Folded Spill
	buffer_store_dword v3, off, s[20:23], 0 offset:408 ; 4-byte Folded Spill
	ds_write2_b64 v3, v[4:5], v[64:65] offset0:32 offset1:81
	ds_write_b64 v2, v[88:89] offset:13328
	buffer_load_dword v2, off, s[20:23], 0 offset:412 ; 4-byte Folded Reload
	v_add_u32_e32 v4, 0x1c00, v66
	s_waitcnt vmcnt(0)
	v_lshlrev_b32_e32 v2, 3, v2
	v_add_u32_e32 v3, 0x3000, v2
	buffer_store_dword v3, off, s[20:23], 0 offset:412 ; 4-byte Folded Spill
	buffer_store_dword v2, off, s[20:23], 0 offset:416 ; 4-byte Folded Spill
	ds_write2_b64 v3, v[240:241], v[68:69] offset0:179 offset1:228
	v_add_u32_e32 v3, 0x3800, v2
	ds_write2_b64 v3, v[116:117], v[118:119] offset0:21 offset1:70
	buffer_store_dword v3, off, s[20:23], 0 offset:420 ; 4-byte Folded Spill
	ds_write2_b64 v3, v[6:7], v[112:113] offset0:119 offset1:168
	ds_write_b64 v2, v[114:115] offset:16072
	buffer_load_dword v2, off, s[20:23], 0 offset:424 ; 4-byte Folded Reload
	s_waitcnt vmcnt(0)
	v_lshlrev_b32_e32 v2, 3, v2
	v_add_u32_e32 v3, 0x4000, v2
	buffer_store_dword v2, off, s[20:23], 0 offset:428 ; 4-byte Folded Spill
	ds_write2_b64 v3, v[244:245], v[246:247] offset0:10 offset1:59
	buffer_store_dword v3, off, s[20:23], 0 offset:424 ; 4-byte Folded Spill
	ds_write2_b64 v3, v[76:77], v[78:79] offset0:108 offset1:157
	ds_write2_b64 v3, v[70:71], v[242:243] offset0:206 offset1:255
	ds_write_b64 v2, v[0:1] offset:18816
	s_waitcnt lgkmcnt(0)
	; wave barrier
	s_waitcnt lgkmcnt(0)
	ds_read2_b64 v[96:99], v66 offset1:49
	ds_read2_b64 v[240:243], v95 offset0:38 offset1:87
	ds_read2_b64 v[0:3], v13 offset0:174 offset1:223
	v_add_u32_e32 v13, 0x2000, v66
	ds_read2_b64 v[16:19], v4 offset0:84 offset1:133
	ds_read2_b64 v[54:57], v10 offset0:92 offset1:141
	ds_read2_b64 v[4:7], v9 offset0:130 offset1:179
	ds_read2_b64 v[90:93], v8 offset0:10 offset1:59
	ds_read2_b64 v[100:103], v95 offset0:136 offset1:185
	ds_read2_b64 v[106:109], v13 offset0:54 offset1:103
	ds_read2_b64 v[110:113], v11 offset0:100 offset1:149
	ds_read2_b64 v[248:251], v66 offset0:98 offset1:147
	v_add_u32_e32 v11, 0x1800, v66
	ds_read2_b64 v[114:117], v11 offset0:16 offset1:65
	ds_read2_b64 v[252:255], v10 offset0:190 offset1:239
	;; [unrolled: 1-line block ×5, first 2 shown]
	v_add_u32_e32 v10, 0x3800, v66
	ds_read2_b64 v[36:39], v10 offset0:70 offset1:119
	ds_read2_b64 v[244:247], v66 offset0:196 offset1:245
	;; [unrolled: 1-line block ×6, first 2 shown]
	v_add_u32_e32 v8, 0x2400, v66
	ds_read2_b64 v[12:15], v8 offset0:122 offset1:171
	ds_read2_b64 v[8:11], v10 offset0:168 offset1:217
	ds_read_b64 v[52:53], v66 offset:18816
	global_load_dwordx4 v[62:65], v[60:61], off offset:2720
	global_load_dwordx4 v[69:72], v[60:61], off offset:2704
	;; [unrolled: 1-line block ×3, first 2 shown]
	s_waitcnt vmcnt(0)
	buffer_store_dword v73, off, s[20:23], 0 offset:464 ; 4-byte Folded Spill
	s_nop 0
	buffer_store_dword v74, off, s[20:23], 0 offset:468 ; 4-byte Folded Spill
	buffer_store_dword v75, off, s[20:23], 0 offset:472 ; 4-byte Folded Spill
	buffer_store_dword v76, off, s[20:23], 0 offset:476 ; 4-byte Folded Spill
	buffer_store_dword v69, off, s[20:23], 0 offset:448 ; 4-byte Folded Spill
	s_nop 0
	buffer_store_dword v70, off, s[20:23], 0 offset:452 ; 4-byte Folded Spill
	buffer_store_dword v71, off, s[20:23], 0 offset:456 ; 4-byte Folded Spill
	buffer_store_dword v72, off, s[20:23], 0 offset:460 ; 4-byte Folded Spill
	;; [unrolled: 5-line block ×3, first 2 shown]
	s_waitcnt lgkmcnt(14)
	v_mul_f32_e32 v58, v243, v74
	v_mul_f32_e32 v85, v0, v76
	v_fma_f32 v67, v242, v73, -v58
	v_mul_f32_e32 v58, v1, v76
	v_fmac_f32_e32 v85, v1, v75
	buffer_load_dword v1, off, s[20:23], 0 offset:500 ; 4-byte Folded Reload
	v_fma_f32 v84, v0, v75, -v58
	v_mul_f32_e32 v0, v19, v70
	v_fma_f32 v76, v18, v69, -v0
	v_mul_f32_e32 v0, v55, v72
	;; [unrolled: 2-line block ×3, first 2 shown]
	v_mul_f32_e32 v89, v6, v63
	v_fma_f32 v88, v6, v62, -v0
	v_fmac_f32_e32 v89, v7, v62
	v_mul_f32_e32 v0, v91, v65
	v_mul_f32_e32 v77, v18, v70
	;; [unrolled: 1-line block ×3, first 2 shown]
	v_fma_f32 v54, v90, v64, -v0
	v_mul_f32_e32 v0, v90, v65
	v_fmac_f32_e32 v77, v19, v69
	v_fmac_f32_e32 v83, v55, v71
	;; [unrolled: 1-line block ×3, first 2 shown]
	v_mul_f32_e32 v68, v242, v74
	v_fmac_f32_e32 v68, v243, v73
	s_waitcnt vmcnt(0)
	v_mad_u64_u32 v[6:7], s[8:9], v1, 48, s[10:11]
	global_load_dwordx4 v[58:61], v[6:7], off offset:2720
	global_load_dwordx4 v[62:65], v[6:7], off offset:2704
	;; [unrolled: 1-line block ×3, first 2 shown]
	s_waitcnt vmcnt(0)
	buffer_store_dword v69, off, s[20:23], 0 offset:500 ; 4-byte Folded Spill
	s_nop 0
	buffer_store_dword v70, off, s[20:23], 0 offset:504 ; 4-byte Folded Spill
	buffer_store_dword v71, off, s[20:23], 0 offset:508 ; 4-byte Folded Spill
	;; [unrolled: 1-line block ×3, first 2 shown]
	v_mul_f32_e32 v73, v106, v63
	v_fmac_f32_e32 v73, v107, v62
	s_movk_i32 s8, 0x13b0
	v_mul_f32_e32 v1, v101, v70
	v_fma_f32 v74, v100, v69, -v1
	v_mul_f32_e32 v1, v3, v72
	v_mul_f32_e32 v75, v100, v70
	v_fma_f32 v100, v2, v71, -v1
	v_mul_f32_e32 v1, v107, v63
	v_fmac_f32_e32 v75, v101, v69
	v_mul_f32_e32 v101, v2, v72
	v_fma_f32 v72, v106, v62, -v1
	v_mul_f32_e32 v1, v57, v65
	v_fma_f32 v104, v56, v64, -v1
	buffer_store_dword v62, off, s[20:23], 0 offset:516 ; 4-byte Folded Spill
	s_nop 0
	buffer_store_dword v63, off, s[20:23], 0 offset:520 ; 4-byte Folded Spill
	buffer_store_dword v64, off, s[20:23], 0 offset:524 ; 4-byte Folded Spill
	;; [unrolled: 1-line block ×3, first 2 shown]
	v_mul_f32_e32 v1, v111, v59
	v_fmac_f32_e32 v101, v3, v71
	v_mul_f32_e32 v105, v56, v65
	v_fma_f32 v56, v110, v58, -v1
	v_mul_f32_e32 v65, v110, v59
	v_mul_f32_e32 v1, v93, v61
	v_fmac_f32_e32 v65, v111, v58
	v_fma_f32 v110, v92, v60, -v1
	buffer_store_dword v58, off, s[20:23], 0 offset:532 ; 4-byte Folded Spill
	s_nop 0
	buffer_store_dword v59, off, s[20:23], 0 offset:536 ; 4-byte Folded Spill
	buffer_store_dword v60, off, s[20:23], 0 offset:540 ; 4-byte Folded Spill
	;; [unrolled: 1-line block ×3, first 2 shown]
	v_add_co_u32_e32 v1, vcc, s8, v6
	v_addc_co_u32_e32 v2, vcc, 0, v7, vcc
	v_fmac_f32_e32 v105, v57, v64
	s_movk_i32 s8, 0x1ce0
	v_mul_f32_e32 v111, v92, v61
	v_add_co_u32_e32 v61, vcc, s14, v6
	v_addc_co_u32_e32 v62, vcc, 0, v7, vcc
	v_fmac_f32_e32 v111, v93, v60
	global_load_dwordx4 v[57:60], v[61:62], off offset:944
	global_load_dwordx4 v[90:93], v[1:2], off offset:32
	;; [unrolled: 1-line block ×3, first 2 shown]
	s_waitcnt vmcnt(2)
	buffer_store_dword v57, off, s[20:23], 0 offset:548 ; 4-byte Folded Spill
	s_nop 0
	buffer_store_dword v58, off, s[20:23], 0 offset:552 ; 4-byte Folded Spill
	buffer_store_dword v59, off, s[20:23], 0 offset:556 ; 4-byte Folded Spill
	;; [unrolled: 1-line block ×3, first 2 shown]
	s_waitcnt vmcnt(4)
	buffer_store_dword v78, off, s[20:23], 0 offset:568 ; 4-byte Folded Spill
	s_nop 0
	buffer_store_dword v79, off, s[20:23], 0 offset:572 ; 4-byte Folded Spill
	buffer_store_dword v80, off, s[20:23], 0 offset:576 ; 4-byte Folded Spill
	;; [unrolled: 1-line block ×4, first 2 shown]
	s_nop 0
	buffer_store_dword v91, off, s[20:23], 0 offset:588 ; 4-byte Folded Spill
	buffer_store_dword v92, off, s[20:23], 0 offset:592 ; 4-byte Folded Spill
	;; [unrolled: 1-line block ×3, first 2 shown]
	v_mul_f32_e32 v1, v103, v58
	v_fma_f32 v106, v102, v57, -v1
	s_waitcnt lgkmcnt(13)
	v_mul_f32_e32 v1, v115, v60
	v_fma_f32 v95, v114, v59, -v1
	v_mul_f32_e32 v1, v109, v79
	v_fma_f32 v107, v108, v78, -v1
	v_mul_f32_e32 v86, v108, v79
	s_waitcnt lgkmcnt(12)
	v_mul_f32_e32 v1, v253, v81
	v_fmac_f32_e32 v86, v109, v78
	v_fma_f32 v109, v252, v80, -v1
	v_mul_f32_e32 v1, v113, v91
	v_mul_f32_e32 v3, v252, v81
	v_fma_f32 v252, v112, v90, -v1
	s_waitcnt lgkmcnt(11)
	v_mul_f32_e32 v1, v49, v93
	v_mul_f32_e32 v18, v102, v58
	;; [unrolled: 1-line block ×3, first 2 shown]
	v_fma_f32 v243, v48, v92, -v1
	v_mul_f32_e32 v1, v48, v93
	v_add_co_u32_e32 v48, vcc, s8, v6
	v_fmac_f32_e32 v18, v103, v57
	v_fmac_f32_e32 v19, v115, v59
	;; [unrolled: 1-line block ×4, first 2 shown]
	v_addc_co_u32_e32 v49, vcc, 0, v7, vcc
	global_load_dwordx4 v[61:64], v[61:62], off offset:3296
	s_nop 0
	global_load_dwordx4 v[57:60], v[48:49], off offset:32
	global_load_dwordx4 v[78:81], v[48:49], off offset:16
	v_mul_f32_e32 v2, v112, v91
	v_fmac_f32_e32 v2, v113, v90
	s_movk_i32 s8, 0x2610
	s_waitcnt vmcnt(2) lgkmcnt(10)
	v_mul_f32_e32 v48, v45, v62
	v_mov_b32_e32 v93, v64
	v_fma_f32 v71, v44, v61, -v48
	v_mul_f32_e32 v49, v44, v62
	v_mov_b32_e32 v92, v63
	v_mul_f32_e32 v44, v117, v93
	s_waitcnt vmcnt(0) lgkmcnt(9)
	v_mul_f32_e32 v48, v40, v79
	v_mov_b32_e32 v91, v62
	v_mov_b32_e32 v90, v61
	v_fma_f32 v64, v116, v92, -v44
	v_mul_f32_e32 v44, v41, v79
	v_fmac_f32_e32 v48, v41, v78
	s_waitcnt lgkmcnt(8)
	v_mul_f32_e32 v41, v37, v58
	v_fmac_f32_e32 v49, v45, v61
	v_fma_f32 v69, v40, v78, -v44
	v_mul_f32_e32 v40, v255, v81
	v_fma_f32 v61, v36, v57, -v41
	v_mul_f32_e32 v41, v36, v58
	v_mul_f32_e32 v36, v51, v60
	buffer_store_dword v90, off, s[20:23], 0 offset:600 ; 4-byte Folded Spill
	s_nop 0
	buffer_store_dword v91, off, s[20:23], 0 offset:604 ; 4-byte Folded Spill
	buffer_store_dword v92, off, s[20:23], 0 offset:608 ; 4-byte Folded Spill
	;; [unrolled: 1-line block ×3, first 2 shown]
	v_fma_f32 v62, v254, v80, -v40
	buffer_store_dword v78, off, s[20:23], 0 offset:616 ; 4-byte Folded Spill
	s_nop 0
	buffer_store_dword v79, off, s[20:23], 0 offset:620 ; 4-byte Folded Spill
	buffer_store_dword v80, off, s[20:23], 0 offset:624 ; 4-byte Folded Spill
	;; [unrolled: 1-line block ×3, first 2 shown]
	v_fmac_f32_e32 v41, v37, v57
	v_fma_f32 v36, v50, v59, -v36
	buffer_store_dword v57, off, s[20:23], 0 offset:632 ; 4-byte Folded Spill
	s_nop 0
	buffer_store_dword v58, off, s[20:23], 0 offset:636 ; 4-byte Folded Spill
	buffer_store_dword v59, off, s[20:23], 0 offset:640 ; 4-byte Folded Spill
	;; [unrolled: 1-line block ×3, first 2 shown]
	v_mul_f32_e32 v45, v116, v93
	v_fmac_f32_e32 v45, v117, v92
	v_mul_f32_e32 v40, v254, v81
	v_fmac_f32_e32 v40, v255, v80
	v_mul_f32_e32 v44, v50, v60
	v_add_co_u32_e32 v50, vcc, s8, v6
	v_fmac_f32_e32 v44, v51, v59
	v_addc_co_u32_e32 v51, vcc, 0, v7, vcc
	v_add_co_u32_e32 v92, vcc, s7, v6
	v_addc_co_u32_e32 v93, vcc, 0, v7, vcc
	global_load_dwordx4 v[116:119], v[92:93], off offset:1552
	global_load_dwordx4 v[112:115], v[50:51], off offset:32
	global_load_dwordx4 v[78:81], v[50:51], off offset:16
	s_waitcnt vmcnt(2)
	buffer_store_dword v116, off, s[20:23], 0 offset:648 ; 4-byte Folded Spill
	s_nop 0
	buffer_store_dword v117, off, s[20:23], 0 offset:652 ; 4-byte Folded Spill
	buffer_store_dword v118, off, s[20:23], 0 offset:656 ; 4-byte Folded Spill
	;; [unrolled: 1-line block ×3, first 2 shown]
	s_movk_i32 s7, 0x2f40
	v_mul_f32_e32 v37, v47, v117
	v_fma_f32 v58, v46, v116, -v37
	v_mul_f32_e32 v59, v46, v117
	s_waitcnt lgkmcnt(6)
	v_mul_f32_e32 v37, v33, v119
	v_mul_f32_e32 v55, v32, v119
	v_fmac_f32_e32 v59, v47, v116
	v_fma_f32 v108, v32, v118, -v37
	v_fmac_f32_e32 v55, v33, v118
	s_waitcnt vmcnt(4)
	v_mov_b32_e32 v119, v81
	v_mov_b32_e32 v118, v80
	v_mov_b32_e32 v117, v79
	v_mov_b32_e32 v116, v78
	buffer_store_dword v116, off, s[20:23], 0 offset:664 ; 4-byte Folded Spill
	s_nop 0
	buffer_store_dword v117, off, s[20:23], 0 offset:668 ; 4-byte Folded Spill
	buffer_store_dword v118, off, s[20:23], 0 offset:672 ; 4-byte Folded Spill
	;; [unrolled: 1-line block ×4, first 2 shown]
	s_nop 0
	buffer_store_dword v113, off, s[20:23], 0 offset:684 ; 4-byte Folded Spill
	buffer_store_dword v114, off, s[20:23], 0 offset:688 ; 4-byte Folded Spill
	;; [unrolled: 1-line block ×3, first 2 shown]
	v_mul_f32_e32 v32, v43, v117
	v_fma_f32 v79, v42, v116, -v32
	s_waitcnt lgkmcnt(5)
	v_mul_f32_e32 v32, v29, v119
	v_mul_f32_e32 v255, v28, v119
	v_fma_f32 v254, v28, v118, -v32
	v_fmac_f32_e32 v255, v29, v118
	v_mul_f32_e32 v28, v39, v113
	s_waitcnt lgkmcnt(4)
	v_mul_f32_e32 v29, v25, v115
	v_mul_f32_e32 v63, v42, v117
	v_fma_f32 v37, v38, v112, -v28
	v_mul_f32_e32 v28, v38, v113
	v_fma_f32 v102, v24, v114, -v29
	v_mul_f32_e32 v103, v24, v115
	v_add_co_u32_e32 v24, vcc, s7, v6
	v_fmac_f32_e32 v63, v43, v116
	v_fmac_f32_e32 v28, v39, v112
	;; [unrolled: 1-line block ×3, first 2 shown]
	v_addc_co_u32_e32 v25, vcc, 0, v7, vcc
	global_load_dwordx4 v[90:93], v[92:93], off offset:3904
	s_nop 0
	global_load_dwordx4 v[112:115], v[24:25], off offset:32
	global_load_dwordx4 v[116:119], v[24:25], off offset:16
	s_movk_i32 s7, 0x3870
	s_waitcnt vmcnt(2) lgkmcnt(3)
	v_mul_f32_e32 v24, v21, v91
	v_fma_f32 v94, v20, v90, -v24
	v_mul_f32_e32 v57, v20, v91
	v_mul_f32_e32 v20, v35, v93
	v_fma_f32 v20, v34, v92, -v20
	v_fmac_f32_e32 v57, v21, v90
	buffer_store_dword v20, off, s[20:23], 0 offset:996 ; 4-byte Folded Spill
	buffer_store_dword v90, off, s[20:23], 0 offset:752 ; 4-byte Folded Spill
	s_nop 0
	buffer_store_dword v91, off, s[20:23], 0 offset:756 ; 4-byte Folded Spill
	buffer_store_dword v92, off, s[20:23], 0 offset:760 ; 4-byte Folded Spill
	;; [unrolled: 1-line block ×3, first 2 shown]
	s_waitcnt vmcnt(5) lgkmcnt(2)
	v_mul_f32_e32 v20, v13, v117
	v_fma_f32 v20, v12, v116, -v20
	v_mul_f32_e32 v12, v12, v117
	v_fmac_f32_e32 v12, v13, v116
	v_mul_f32_e32 v13, v31, v119
	v_fma_f32 v13, v30, v118, -v13
	buffer_store_dword v20, off, s[20:23], 0 offset:992 ; 4-byte Folded Spill
	buffer_store_dword v13, off, s[20:23], 0 offset:1000 ; 4-byte Folded Spill
	;; [unrolled: 1-line block ×3, first 2 shown]
	s_nop 0
	buffer_store_dword v117, off, s[20:23], 0 offset:788 ; 4-byte Folded Spill
	buffer_store_dword v118, off, s[20:23], 0 offset:792 ; 4-byte Folded Spill
	buffer_store_dword v119, off, s[20:23], 0 offset:796 ; 4-byte Folded Spill
	s_waitcnt lgkmcnt(1)
	v_mul_f32_e32 v13, v9, v113
	v_fma_f32 v13, v8, v112, -v13
	v_mul_f32_e32 v253, v8, v113
	v_mul_f32_e32 v8, v27, v115
	buffer_store_dword v13, off, s[20:23], 0 offset:1004 ; 4-byte Folded Spill
	v_fmac_f32_e32 v253, v9, v112
	v_fma_f32 v29, v26, v114, -v8
	buffer_store_dword v112, off, s[20:23], 0 offset:848 ; 4-byte Folded Spill
	s_nop 0
	buffer_store_dword v113, off, s[20:23], 0 offset:852 ; 4-byte Folded Spill
	buffer_store_dword v114, off, s[20:23], 0 offset:856 ; 4-byte Folded Spill
	;; [unrolled: 1-line block ×3, first 2 shown]
	v_add_co_u32_e32 v20, vcc, s7, v6
	v_addc_co_u32_e32 v21, vcc, 0, v7, vcc
	v_add_co_u32_e32 v6, vcc, s6, v6
	v_addc_co_u32_e32 v7, vcc, 0, v7, vcc
	v_add_f32_e32 v9, v68, v0
	v_add_f32_e32 v13, v85, v89
	v_sub_f32_e32 v0, v68, v0
	s_mul_hi_u32 s6, s0, 0xffffc138
	s_sub_i32 s6, s6, s0
	v_mul_f32_e32 v242, v34, v93
	v_fmac_f32_e32 v242, v35, v92
	v_mul_f32_e32 v87, v30, v119
	v_fmac_f32_e32 v87, v31, v118
	;; [unrolled: 2-line block ×3, first 2 shown]
	global_load_dwordx4 v[116:119], v[6:7], off offset:2160
	global_load_dwordx4 v[24:27], v[20:21], off offset:32
	;; [unrolled: 1-line block ×3, first 2 shown]
	v_add_f32_e32 v7, v67, v54
	v_add_f32_e32 v20, v77, v83
	v_sub_f32_e32 v21, v82, v76
	s_waitcnt vmcnt(2)
	v_mul_f32_e32 v6, v23, v117
	v_fma_f32 v80, v22, v116, -v6
	v_mul_f32_e32 v6, v17, v119
	v_fma_f32 v81, v16, v118, -v6
	v_mul_f32_e32 v78, v16, v119
	s_waitcnt vmcnt(0)
	v_mul_f32_e32 v6, v15, v31
	v_fmac_f32_e32 v78, v17, v118
	v_fma_f32 v91, v14, v30, -v6
	v_mul_f32_e32 v17, v14, v31
	v_mul_f32_e32 v6, v5, v33
	v_fmac_f32_e32 v17, v15, v30
	v_fma_f32 v92, v4, v32, -v6
	buffer_store_dword v30, off, s[20:23], 0 offset:868 ; 4-byte Folded Spill
	s_nop 0
	buffer_store_dword v31, off, s[20:23], 0 offset:872 ; 4-byte Folded Spill
	buffer_store_dword v32, off, s[20:23], 0 offset:876 ; 4-byte Folded Spill
	buffer_store_dword v33, off, s[20:23], 0 offset:880 ; 4-byte Folded Spill
	buffer_store_dword v24, off, s[20:23], 0 offset:884 ; 4-byte Folded Spill
	s_nop 0
	buffer_store_dword v25, off, s[20:23], 0 offset:888 ; 4-byte Folded Spill
	buffer_store_dword v26, off, s[20:23], 0 offset:892 ; 4-byte Folded Spill
	;; [unrolled: 1-line block ×3, first 2 shown]
	v_mul_f32_e32 v70, v22, v117
	v_fmac_f32_e32 v70, v23, v116
	v_sub_f32_e32 v14, v84, v88
	v_add_f32_e32 v16, v76, v82
	v_sub_f32_e32 v15, v85, v89
	v_sub_f32_e32 v22, v83, v77
	;; [unrolled: 1-line block ×3, first 2 shown]
	v_add_f32_e32 v30, v22, v15
	v_mul_f32_e32 v31, 0xbf08b237, v31
	v_mul_f32_e32 v6, v4, v33
	;; [unrolled: 1-line block ×4, first 2 shown]
	v_fma_f32 v93, v10, v24, -v4
	v_fmac_f32_e32 v90, v11, v24
	s_waitcnt lgkmcnt(0)
	v_mul_f32_e32 v4, v53, v27
	v_add_f32_e32 v11, v84, v88
	v_fmac_f32_e32 v6, v5, v32
	v_fma_f32 v5, v52, v26, -v4
	v_mul_f32_e32 v4, v52, v27
	v_add_f32_e32 v23, v11, v7
	v_fmac_f32_e32 v4, v53, v26
	v_sub_f32_e32 v10, v67, v54
	v_add_f32_e32 v24, v13, v9
	v_sub_f32_e32 v25, v11, v7
	v_sub_f32_e32 v26, v13, v9
	;; [unrolled: 1-line block ×5, first 2 shown]
	v_add_f32_e32 v9, v21, v14
	v_add_f32_e32 v16, v16, v23
	v_sub_f32_e32 v13, v20, v13
	v_add_f32_e32 v20, v20, v24
	v_add_f32_e32 v23, v9, v10
	;; [unrolled: 1-line block ×3, first 2 shown]
	v_sub_f32_e32 v32, v22, v15
	v_sub_f32_e32 v21, v10, v21
	;; [unrolled: 1-line block ×3, first 2 shown]
	v_add_f32_e32 v10, v20, v97
	v_mov_b32_e32 v35, v9
	v_sub_f32_e32 v15, v15, v0
	v_mul_f32_e32 v7, 0x3f4a47b2, v7
	v_mul_f32_e32 v24, 0x3f4a47b2, v27
	;; [unrolled: 1-line block ×4, first 2 shown]
	v_fmac_f32_e32 v35, 0xbf955555, v16
	v_mov_b32_e32 v16, v10
	v_sub_f32_e32 v22, v0, v22
	v_add_f32_e32 v0, v30, v0
	v_mul_f32_e32 v30, 0x3d64c772, v13
	v_mul_f32_e32 v33, 0xbf5ff5aa, v14
	;; [unrolled: 1-line block ×3, first 2 shown]
	v_fmac_f32_e32 v16, 0xbf955555, v20
	v_fma_f32 v20, v25, s3, -v27
	v_fma_f32 v25, v25, s4, -v7
	v_fmac_f32_e32 v7, 0x3d64c772, v11
	v_fma_f32 v11, v26, s4, -v24
	v_fmac_f32_e32 v24, 0x3d64c772, v13
	v_fma_f32 v13, v14, s5, -v31
	v_fma_f32 v14, v15, s5, -v32
	v_fmac_f32_e32 v31, 0x3eae86e6, v21
	v_fmac_f32_e32 v32, 0x3eae86e6, v22
	;; [unrolled: 1-line block ×3, first 2 shown]
	v_add_f32_e32 v22, v20, v35
	v_fmac_f32_e32 v14, 0x3ee1c552, v0
	v_fma_f32 v27, v26, s3, -v30
	v_fmac_f32_e32 v33, 0xbeae86e6, v21
	v_add_f32_e32 v7, v7, v35
	v_add_f32_e32 v15, v24, v16
	v_fmac_f32_e32 v31, 0x3ee1c552, v23
	v_fmac_f32_e32 v32, 0x3ee1c552, v0
	;; [unrolled: 1-line block ×3, first 2 shown]
	v_sub_f32_e32 v67, v22, v14
	v_add_f32_e32 v76, v14, v22
	v_add_f32_e32 v0, v74, v110
	;; [unrolled: 1-line block ×4, first 2 shown]
	v_fmac_f32_e32 v13, 0x3ee1c552, v23
	v_fmac_f32_e32 v33, 0x3ee1c552, v23
	v_add_f32_e32 v20, v32, v7
	v_sub_f32_e32 v21, v15, v31
	v_sub_f32_e32 v88, v7, v32
	v_add_f32_e32 v89, v31, v15
	v_add_f32_e32 v7, v75, v111
	v_add_f32_e32 v15, v101, v65
	v_add_f32_e32 v23, v72, v104
	v_add_f32_e32 v27, v14, v0
	v_add_f32_e32 v25, v25, v35
	v_add_f32_e32 v68, v13, v24
	v_sub_f32_e32 v77, v24, v13
	v_add_f32_e32 v24, v73, v105
	v_add_f32_e32 v30, v15, v7
	v_sub_f32_e32 v31, v14, v0
	v_sub_f32_e32 v0, v0, v23
	;; [unrolled: 1-line block ×3, first 2 shown]
	v_add_f32_e32 v23, v23, v27
	v_add_f32_e32 v11, v11, v16
	;; [unrolled: 1-line block ×3, first 2 shown]
	v_sub_f32_e32 v84, v25, v34
	v_sub_f32_e32 v16, v100, v56
	;; [unrolled: 1-line block ×8, first 2 shown]
	v_add_f32_e32 v24, v24, v30
	v_add_f32_e32 v38, v23, v98
	v_sub_f32_e32 v97, v11, v33
	v_add_f32_e32 v85, v33, v11
	v_sub_f32_e32 v11, v74, v110
	v_sub_f32_e32 v13, v75, v111
	v_add_f32_e32 v33, v25, v16
	v_add_f32_e32 v34, v26, v22
	v_sub_f32_e32 v35, v25, v16
	v_sub_f32_e32 v42, v26, v22
	v_add_f32_e32 v39, v24, v99
	v_mov_b32_e32 v43, v38
	v_sub_f32_e32 v25, v11, v25
	v_sub_f32_e32 v26, v13, v26
	;; [unrolled: 1-line block ×4, first 2 shown]
	v_add_f32_e32 v11, v33, v11
	v_add_f32_e32 v13, v34, v13
	v_mul_f32_e32 v0, 0x3f4a47b2, v0
	v_mul_f32_e32 v7, 0x3f4a47b2, v7
	;; [unrolled: 1-line block ×6, first 2 shown]
	v_fmac_f32_e32 v43, 0xbf955555, v23
	v_mov_b32_e32 v23, v39
	v_mul_f32_e32 v35, 0xbf5ff5aa, v16
	v_mul_f32_e32 v42, 0xbf5ff5aa, v22
	v_fmac_f32_e32 v23, 0xbf955555, v24
	v_fma_f32 v24, v31, s3, -v27
	v_fma_f32 v27, v32, s3, -v30
	;; [unrolled: 1-line block ×3, first 2 shown]
	v_fmac_f32_e32 v0, 0x3d64c772, v14
	v_fma_f32 v14, v32, s4, -v7
	v_fmac_f32_e32 v7, 0x3d64c772, v15
	v_fma_f32 v15, v16, s5, -v33
	v_fma_f32 v16, v22, s5, -v34
	v_fmac_f32_e32 v34, 0x3eae86e6, v26
	v_fmac_f32_e32 v33, 0x3eae86e6, v25
	;; [unrolled: 1-line block ×4, first 2 shown]
	v_add_f32_e32 v0, v0, v43
	v_fmac_f32_e32 v34, 0x3ee1c552, v13
	v_add_f32_e32 v7, v7, v23
	v_add_f32_e32 v26, v24, v43
	;; [unrolled: 1-line block ×4, first 2 shown]
	v_fmac_f32_e32 v33, 0x3ee1c552, v11
	v_fmac_f32_e32 v15, 0x3ee1c552, v11
	;; [unrolled: 1-line block ×5, first 2 shown]
	v_add_f32_e32 v24, v34, v0
	v_sub_f32_e32 v104, v0, v34
	v_add_f32_e32 v0, v106, v243
	v_add_f32_e32 v13, v95, v252
	;; [unrolled: 1-line block ×3, first 2 shown]
	v_sub_f32_e32 v25, v7, v33
	v_sub_f32_e32 v23, v14, v35
	;; [unrolled: 1-line block ×3, first 2 shown]
	v_add_f32_e32 v73, v15, v27
	v_add_f32_e32 v98, v16, v26
	v_sub_f32_e32 v99, v27, v15
	v_add_f32_e32 v101, v35, v14
	v_add_f32_e32 v105, v33, v7
	;; [unrolled: 1-line block ×4, first 2 shown]
	v_sub_f32_e32 v15, v95, v252
	v_sub_f32_e32 v2, v19, v2
	v_add_f32_e32 v16, v107, v109
	v_sub_f32_e32 v19, v109, v107
	v_add_f32_e32 v26, v13, v0
	v_add_f32_e32 v22, v42, v30
	v_sub_f32_e32 v100, v30, v42
	v_sub_f32_e32 v11, v106, v243
	;; [unrolled: 1-line block ×3, first 2 shown]
	v_add_f32_e32 v18, v86, v3
	v_sub_f32_e32 v3, v3, v86
	v_add_f32_e32 v27, v14, v7
	v_sub_f32_e32 v32, v13, v0
	v_sub_f32_e32 v0, v0, v16
	;; [unrolled: 1-line block ×3, first 2 shown]
	v_add_f32_e32 v30, v19, v15
	v_add_f32_e32 v16, v16, v26
	v_sub_f32_e32 v33, v14, v7
	v_sub_f32_e32 v7, v7, v18
	;; [unrolled: 1-line block ×3, first 2 shown]
	v_add_f32_e32 v31, v3, v2
	v_sub_f32_e32 v34, v19, v15
	v_sub_f32_e32 v19, v11, v19
	;; [unrolled: 1-line block ×3, first 2 shown]
	v_add_f32_e32 v18, v18, v27
	v_add_f32_e32 v11, v30, v11
	;; [unrolled: 1-line block ×3, first 2 shown]
	v_sub_f32_e32 v35, v3, v2
	v_sub_f32_e32 v3, v1, v3
	;; [unrolled: 1-line block ×3, first 2 shown]
	v_add_f32_e32 v1, v31, v1
	v_add_f32_e32 v31, v18, v249
	v_mov_b32_e32 v46, v30
	v_mul_f32_e32 v0, 0x3f4a47b2, v0
	v_mul_f32_e32 v7, 0x3f4a47b2, v7
	;; [unrolled: 1-line block ×6, first 2 shown]
	v_fmac_f32_e32 v46, 0xbf955555, v16
	v_mov_b32_e32 v16, v31
	v_mul_f32_e32 v42, 0xbf5ff5aa, v2
	v_fmac_f32_e32 v16, 0xbf955555, v18
	v_fma_f32 v18, v32, s3, -v26
	v_fma_f32 v26, v33, s3, -v27
	v_fma_f32 v27, v32, s4, -v0
	v_fmac_f32_e32 v0, 0x3d64c772, v13
	v_fma_f32 v13, v33, s4, -v7
	v_fmac_f32_e32 v7, 0x3d64c772, v14
	v_fma_f32 v14, v15, s5, -v34
	v_fma_f32 v2, v2, s5, -v35
	v_fmac_f32_e32 v35, 0x3eae86e6, v3
	v_mul_f32_e32 v43, 0xbf5ff5aa, v15
	v_fmac_f32_e32 v42, 0xbeae86e6, v3
	v_add_f32_e32 v0, v0, v46
	v_add_f32_e32 v3, v7, v16
	;; [unrolled: 1-line block ×4, first 2 shown]
	v_fmac_f32_e32 v35, 0x3ee1c552, v1
	v_fmac_f32_e32 v14, 0x3ee1c552, v11
	;; [unrolled: 1-line block ×5, first 2 shown]
	v_add_f32_e32 v18, v27, v46
	v_fmac_f32_e32 v42, 0x3ee1c552, v1
	v_add_f32_e32 v52, v35, v0
	v_sub_f32_e32 v46, v7, v2
	v_add_f32_e32 v47, v14, v15
	v_add_f32_e32 v106, v2, v7
	v_sub_f32_e32 v107, v15, v14
	v_sub_f32_e32 v15, v0, v35
	v_add_f32_e32 v0, v71, v36
	v_add_f32_e32 v7, v64, v61
	v_fmac_f32_e32 v34, 0x3ee1c552, v11
	v_fmac_f32_e32 v43, 0x3ee1c552, v11
	v_add_f32_e32 v50, v42, v18
	v_sub_f32_e32 v42, v18, v42
	v_add_f32_e32 v1, v49, v44
	v_add_f32_e32 v11, v45, v41
	;; [unrolled: 1-line block ×5, first 2 shown]
	v_sub_f32_e32 v53, v3, v34
	v_add_f32_e32 v16, v34, v3
	v_sub_f32_e32 v14, v45, v41
	v_add_f32_e32 v19, v48, v40
	;; [unrolled: 2-line block ×3, first 2 shown]
	v_sub_f32_e32 v34, v7, v0
	v_sub_f32_e32 v0, v0, v18
	;; [unrolled: 1-line block ×3, first 2 shown]
	v_add_f32_e32 v18, v18, v32
	v_sub_f32_e32 v51, v13, v43
	v_add_f32_e32 v43, v43, v13
	v_sub_f32_e32 v2, v71, v36
	v_sub_f32_e32 v3, v49, v44
	;; [unrolled: 1-line block ×7, first 2 shown]
	v_add_f32_e32 v40, v27, v14
	v_add_f32_e32 v19, v19, v33
	;; [unrolled: 1-line block ×4, first 2 shown]
	v_sub_f32_e32 v41, v26, v13
	v_sub_f32_e32 v44, v27, v14
	;; [unrolled: 1-line block ×5, first 2 shown]
	v_add_f32_e32 v3, v40, v3
	v_add_f32_e32 v249, v19, v251
	v_mov_b32_e32 v40, v248
	v_sub_f32_e32 v26, v2, v26
	v_add_f32_e32 v2, v36, v2
	v_mul_f32_e32 v0, 0x3f4a47b2, v0
	v_mul_f32_e32 v1, 0x3f4a47b2, v1
	;; [unrolled: 1-line block ×8, first 2 shown]
	v_fmac_f32_e32 v40, 0xbf955555, v18
	v_mov_b32_e32 v18, v249
	v_fmac_f32_e32 v18, 0xbf955555, v19
	v_fma_f32 v19, v34, s3, -v32
	v_fma_f32 v32, v35, s3, -v33
	;; [unrolled: 1-line block ×3, first 2 shown]
	v_fmac_f32_e32 v0, 0x3d64c772, v7
	v_fma_f32 v7, v35, s4, -v1
	v_fmac_f32_e32 v1, 0x3d64c772, v11
	v_fma_f32 v11, v13, s5, -v36
	v_fma_f32 v13, v14, s5, -v44
	v_fmac_f32_e32 v44, 0x3eae86e6, v27
	v_fmac_f32_e32 v45, 0xbeae86e6, v26
	;; [unrolled: 1-line block ×4, first 2 shown]
	v_add_f32_e32 v0, v0, v40
	v_add_f32_e32 v14, v19, v40
	;; [unrolled: 1-line block ×5, first 2 shown]
	v_fmac_f32_e32 v44, 0x3ee1c552, v3
	v_fmac_f32_e32 v11, 0x3ee1c552, v2
	;; [unrolled: 1-line block ×4, first 2 shown]
	v_add_f32_e32 v1, v1, v18
	v_fmac_f32_e32 v36, 0x3ee1c552, v2
	v_fmac_f32_e32 v13, 0x3ee1c552, v3
	v_add_f32_e32 v48, v44, v0
	v_add_f32_e32 v40, v54, v26
	v_sub_f32_e32 v41, v7, v45
	v_add_f32_e32 v35, v11, v19
	v_sub_f32_e32 v33, v19, v11
	v_sub_f32_e32 v18, v26, v54
	v_add_f32_e32 v19, v45, v7
	v_sub_f32_e32 v26, v0, v44
	v_add_f32_e32 v0, v58, v102
	v_add_f32_e32 v7, v108, v37
	v_sub_f32_e32 v49, v1, v36
	v_sub_f32_e32 v34, v14, v13
	v_add_f32_e32 v32, v13, v14
	v_add_f32_e32 v27, v36, v1
	;; [unrolled: 1-line block ×4, first 2 shown]
	v_sub_f32_e32 v13, v108, v37
	v_sub_f32_e32 v14, v55, v28
	v_add_f32_e32 v28, v79, v254
	v_sub_f32_e32 v37, v254, v79
	v_add_f32_e32 v45, v7, v0
	;; [unrolled: 2-line block ×4, first 2 shown]
	v_sub_f32_e32 v55, v7, v0
	v_sub_f32_e32 v0, v0, v28
	;; [unrolled: 1-line block ×3, first 2 shown]
	v_add_f32_e32 v58, v37, v13
	v_add_f32_e32 v28, v28, v45
	v_sub_f32_e32 v3, v59, v103
	v_sub_f32_e32 v56, v11, v1
	;; [unrolled: 1-line block ×4, first 2 shown]
	v_add_f32_e32 v59, v44, v14
	v_sub_f32_e32 v60, v37, v13
	v_sub_f32_e32 v37, v2, v37
	;; [unrolled: 1-line block ×3, first 2 shown]
	v_add_f32_e32 v36, v36, v54
	v_add_f32_e32 v2, v58, v2
	;; [unrolled: 1-line block ×3, first 2 shown]
	v_sub_f32_e32 v61, v44, v14
	v_sub_f32_e32 v44, v3, v44
	;; [unrolled: 1-line block ×3, first 2 shown]
	v_add_f32_e32 v3, v59, v3
	v_add_f32_e32 v59, v36, v245
	v_mov_b32_e32 v64, v58
	v_mul_f32_e32 v0, 0x3f4a47b2, v0
	v_mul_f32_e32 v1, 0x3f4a47b2, v1
	;; [unrolled: 1-line block ×5, first 2 shown]
	v_fmac_f32_e32 v64, 0xbf955555, v28
	v_mov_b32_e32 v28, v59
	v_mul_f32_e32 v62, 0xbf5ff5aa, v13
	v_mul_f32_e32 v63, 0xbf5ff5aa, v14
	v_fmac_f32_e32 v28, 0xbf955555, v36
	v_fma_f32 v36, v55, s3, -v45
	v_fma_f32 v45, v56, s3, -v54
	;; [unrolled: 1-line block ×3, first 2 shown]
	v_fmac_f32_e32 v0, 0x3d64c772, v7
	v_fma_f32 v7, v56, s4, -v1
	v_fmac_f32_e32 v1, 0x3d64c772, v11
	v_fma_f32 v11, v13, s5, -v60
	v_mul_f32_e32 v61, 0xbf08b237, v61
	v_fmac_f32_e32 v60, 0x3eae86e6, v37
	v_fmac_f32_e32 v62, 0xbeae86e6, v37
	;; [unrolled: 1-line block ×3, first 2 shown]
	v_add_f32_e32 v37, v45, v28
	v_fmac_f32_e32 v11, 0x3ee1c552, v2
	v_fma_f32 v56, v14, s5, -v61
	v_fmac_f32_e32 v61, 0x3eae86e6, v44
	v_add_f32_e32 v1, v1, v28
	v_add_f32_e32 v44, v54, v64
	;; [unrolled: 1-line block ×3, first 2 shown]
	v_fmac_f32_e32 v63, 0x3ee1c552, v3
	v_add_f32_e32 v14, v11, v37
	v_sub_f32_e32 v255, v37, v11
	buffer_load_dword v11, off, s[20:23], 0 offset:996 ; 4-byte Folded Reload
	buffer_load_dword v28, off, s[20:23], 0 offset:1004 ; 4-byte Folded Reload
	v_add_f32_e32 v54, v63, v44
	v_sub_f32_e32 v250, v44, v63
	buffer_load_dword v37, off, s[20:23], 0 offset:992 ; 4-byte Folded Reload
	buffer_load_dword v44, off, s[20:23], 0 offset:1000 ; 4-byte Folded Reload
	v_add_f32_e32 v0, v0, v64
	v_fmac_f32_e32 v61, 0x3ee1c552, v3
	v_fmac_f32_e32 v62, 0x3ee1c552, v2
	v_fmac_f32_e32 v60, 0x3ee1c552, v2
	v_add_f32_e32 v244, v61, v0
	v_sub_f32_e32 v55, v7, v62
	v_add_f32_e32 v251, v62, v7
	v_sub_f32_e32 v62, v0, v61
	v_add_f32_e32 v0, v94, v29
	v_add_f32_e32 v36, v36, v64
	v_fmac_f32_e32 v56, 0x3ee1c552, v3
	v_sub_f32_e32 v245, v1, v60
	v_add_f32_e32 v63, v60, v1
	v_add_f32_e32 v1, v57, v8
	v_sub_f32_e32 v2, v94, v29
	v_sub_f32_e32 v3, v57, v8
	v_add_f32_e32 v8, v242, v253
	v_sub_f32_e32 v13, v36, v56
	v_add_f32_e32 v254, v56, v36
	v_add_f32_e32 v36, v12, v87
	v_sub_f32_e32 v12, v87, v12
	v_add_f32_e32 v45, v8, v1
	v_sub_f32_e32 v57, v8, v1
	v_sub_f32_e32 v61, v1, v36
	;; [unrolled: 1-line block ×3, first 2 shown]
	v_add_f32_e32 v36, v36, v45
	v_mul_f32_e32 v45, 0x3f4a47b2, v61
	v_mul_f32_e32 v61, 0x3d64c772, v8
	ds_write_b64 v66, v[20:21] offset:2744
	ds_write_b64 v66, v[96:97] offset:5488
	;; [unrolled: 1-line block ×6, first 2 shown]
	ds_write2_b64 v66, v[9:10], v[38:39] offset1:49
	v_add_u32_e32 v97, 0x800, v66
	ds_write2_b64 v97, v[24:25], v[52:53] offset0:136 offset1:185
	v_add_u32_e32 v52, 0x1400, v66
	v_add_u32_e32 v53, 0x2000, v66
	;; [unrolled: 1-line block ×3, first 2 shown]
	ds_write2_b64 v52, v[22:23], v[50:51] offset0:95 offset1:144
	ds_write2_b64 v53, v[72:73], v[46:47] offset0:54 offset1:103
	v_add_u32_e32 v46, 0x2c00, v66
	v_add_u32_e32 v9, 0x3800, v66
	;; [unrolled: 1-line block ×4, first 2 shown]
	s_waitcnt vmcnt(2)
	v_add_f32_e32 v7, v11, v28
	v_sub_f32_e32 v11, v11, v28
	v_sub_f32_e32 v28, v242, v253
	s_waitcnt vmcnt(0)
	v_add_f32_e32 v29, v37, v44
	v_sub_f32_e32 v37, v44, v37
	v_add_f32_e32 v44, v7, v0
	v_sub_f32_e32 v56, v7, v0
	v_sub_f32_e32 v60, v0, v29
	;; [unrolled: 1-line block ×3, first 2 shown]
	v_add_f32_e32 v0, v37, v11
	v_add_f32_e32 v29, v29, v44
	;; [unrolled: 1-line block ×3, first 2 shown]
	v_sub_f32_e32 v64, v37, v11
	v_sub_f32_e32 v37, v2, v37
	v_sub_f32_e32 v11, v11, v2
	v_add_f32_e32 v2, v0, v2
	v_add_f32_e32 v0, v29, v246
	v_sub_f32_e32 v65, v12, v28
	v_sub_f32_e32 v12, v3, v12
	;; [unrolled: 1-line block ×3, first 2 shown]
	v_add_f32_e32 v3, v1, v3
	v_add_f32_e32 v1, v36, v247
	v_mov_b32_e32 v74, v0
	v_mul_f32_e32 v44, 0x3f4a47b2, v60
	v_mul_f32_e32 v60, 0x3d64c772, v7
	;; [unrolled: 1-line block ×3, first 2 shown]
	v_fmac_f32_e32 v74, 0xbf955555, v29
	v_mov_b32_e32 v29, v1
	v_mul_f32_e32 v64, 0xbf08b237, v64
	v_mul_f32_e32 v69, 0xbf5ff5aa, v11
	;; [unrolled: 1-line block ×3, first 2 shown]
	v_fmac_f32_e32 v29, 0xbf955555, v36
	v_fma_f32 v36, v56, s3, -v60
	v_fma_f32 v28, v28, s5, -v65
	;; [unrolled: 1-line block ×4, first 2 shown]
	v_fmac_f32_e32 v44, 0x3d64c772, v7
	v_fma_f32 v7, v57, s4, -v45
	v_fmac_f32_e32 v45, 0x3d64c772, v8
	v_fma_f32 v57, v11, s5, -v64
	v_fmac_f32_e32 v64, 0x3eae86e6, v37
	v_fmac_f32_e32 v69, 0xbeae86e6, v37
	v_add_f32_e32 v36, v36, v74
	v_fmac_f32_e32 v28, 0x3ee1c552, v3
	v_fmac_f32_e32 v65, 0x3eae86e6, v12
	;; [unrolled: 1-line block ×3, first 2 shown]
	v_add_f32_e32 v37, v44, v74
	v_add_f32_e32 v44, v45, v29
	;; [unrolled: 1-line block ×4, first 2 shown]
	v_fmac_f32_e32 v64, 0x3ee1c552, v2
	v_fmac_f32_e32 v57, 0x3ee1c552, v2
	;; [unrolled: 1-line block ×3, first 2 shown]
	v_sub_f32_e32 v60, v36, v28
	v_add_f32_e32 v242, v28, v36
	v_add_f32_e32 v2, v80, v5
	;; [unrolled: 1-line block ×3, first 2 shown]
	v_fmac_f32_e32 v65, 0x3ee1c552, v3
	v_fmac_f32_e32 v71, 0x3ee1c552, v3
	v_sub_f32_e32 v12, v44, v64
	v_sub_f32_e32 v8, v29, v69
	v_add_f32_e32 v61, v57, v45
	v_sub_f32_e32 v243, v45, v57
	v_add_f32_e32 v57, v69, v29
	v_add_f32_e32 v247, v64, v44
	v_add_f32_e32 v3, v70, v4
	v_add_f32_e32 v29, v78, v90
	v_add_f32_e32 v44, v91, v92
	v_add_f32_e32 v45, v17, v6
	v_sub_f32_e32 v6, v6, v17
	v_add_f32_e32 v17, v28, v2
	v_add_f32_e32 v11, v65, v37
	v_sub_f32_e32 v246, v37, v65
	v_add_f32_e32 v65, v29, v3
	v_add_f32_e32 v17, v44, v17
	v_add_f32_e32 v56, v56, v74
	v_sub_f32_e32 v36, v81, v93
	v_sub_f32_e32 v37, v78, v90
	;; [unrolled: 1-line block ×6, first 2 shown]
	v_add_f32_e32 v44, v45, v65
	v_add_f32_e32 v90, v17, v240
	;; [unrolled: 1-line block ×3, first 2 shown]
	v_sub_f32_e32 v56, v56, v71
	v_sub_f32_e32 v5, v80, v5
	;; [unrolled: 1-line block ×6, first 2 shown]
	v_add_f32_e32 v71, v64, v36
	v_sub_f32_e32 v75, v64, v36
	v_add_f32_e32 v91, v44, v241
	v_mov_b32_e32 v79, v90
	v_add_f32_e32 v74, v6, v37
	v_sub_f32_e32 v78, v6, v37
	v_sub_f32_e32 v64, v5, v64
	;; [unrolled: 1-line block ×3, first 2 shown]
	v_add_f32_e32 v5, v71, v5
	v_mul_f32_e32 v2, 0x3f4a47b2, v2
	v_mul_f32_e32 v3, 0x3f4a47b2, v3
	;; [unrolled: 1-line block ×5, first 2 shown]
	v_fmac_f32_e32 v79, 0xbf955555, v17
	v_mov_b32_e32 v17, v91
	v_sub_f32_e32 v6, v4, v6
	v_sub_f32_e32 v37, v37, v4
	v_add_f32_e32 v4, v74, v4
	v_mul_f32_e32 v74, 0xbf08b237, v78
	v_mul_f32_e32 v75, 0xbf5ff5aa, v36
	v_fmac_f32_e32 v17, 0xbf955555, v44
	v_fma_f32 v44, v69, s3, -v45
	v_fma_f32 v45, v70, s3, -v65
	;; [unrolled: 1-line block ×3, first 2 shown]
	v_fmac_f32_e32 v2, 0x3d64c772, v28
	v_fma_f32 v28, v70, s4, -v3
	v_fmac_f32_e32 v3, 0x3d64c772, v29
	v_fma_f32 v29, v36, s5, -v71
	v_mul_f32_e32 v78, 0xbf5ff5aa, v37
	v_fmac_f32_e32 v71, 0x3eae86e6, v64
	v_fma_f32 v36, v37, s5, -v74
	v_fmac_f32_e32 v74, 0x3eae86e6, v6
	v_fmac_f32_e32 v75, 0xbeae86e6, v64
	v_add_f32_e32 v45, v45, v17
	v_fmac_f32_e32 v29, 0x3ee1c552, v5
	v_fmac_f32_e32 v78, 0xbeae86e6, v6
	v_add_f32_e32 v6, v2, v79
	v_add_f32_e32 v37, v3, v17
	;; [unrolled: 1-line block ×3, first 2 shown]
	v_fmac_f32_e32 v71, 0x3ee1c552, v5
	v_fmac_f32_e32 v74, 0x3ee1c552, v4
	v_fmac_f32_e32 v75, 0x3ee1c552, v5
	v_add_f32_e32 v5, v29, v45
	v_sub_f32_e32 v241, v45, v29
	v_add_u32_e32 v45, 0x3400, v66
	v_add_f32_e32 v44, v44, v79
	v_add_f32_e32 v64, v65, v79
	v_fmac_f32_e32 v36, 0x3ee1c552, v4
	v_add_f32_e32 v2, v74, v6
	v_sub_f32_e32 v87, v17, v75
	v_add_f32_e32 v79, v75, v17
	v_sub_f32_e32 v70, v6, v74
	v_add_u32_e32 v17, 0x2800, v66
	ds_write2_b64 v45, v[100:101], v[42:43] offset0:100 offset1:149
	v_add_u32_e32 v101, 0x4000, v66
	v_add_u32_e32 v6, 0x1800, v66
	v_fmac_f32_e32 v78, 0x3ee1c552, v4
	v_sub_f32_e32 v3, v37, v71
	v_sub_f32_e32 v4, v44, v36
	v_add_f32_e32 v240, v36, v44
	v_add_f32_e32 v71, v71, v37
	ds_write2_b64 v17, v[98:99], v[106:107] offset0:141 offset1:190
	ds_write2_b64 v101, v[104:105], v[15:16] offset0:59 offset1:108
	ds_write2_b64 v66, v[30:31], v[248:249] offset0:98 offset1:147
	ds_write2_b64 v94, v[48:49], v[244:245] offset0:106 offset1:155
	ds_write2_b64 v6, v[40:41], v[54:55] offset0:65 offset1:114
	ds_write2_b64 v53, v[34:35], v[13:14] offset0:152 offset1:201
	v_add_u32_e32 v55, 0x1000, v66
	v_add_u32_e32 v48, 0x4400, v66
	v_add_f32_e32 v86, v78, v64
	v_sub_f32_e32 v78, v64, v78
	ds_write2_b64 v46, v[32:33], v[254:255] offset0:111 offset1:160
	ds_write2_b64 v9, v[18:19], v[250:251] offset0:70 offset1:119
	;; [unrolled: 1-line block ×4, first 2 shown]
	ds_write_b64 v66, v[90:91] offset:2352
	ds_write2_b64 v55, v[11:12], v[2:3] offset0:76 offset1:125
	ds_write2_b64 v6, v[7:8], v[86:87] offset0:163 offset1:212
	;; [unrolled: 1-line block ×6, first 2 shown]
	s_waitcnt lgkmcnt(0)
	; wave barrier
	s_waitcnt lgkmcnt(0)
	ds_read2_b64 v[10:13], v66 offset1:49
	buffer_load_dword v50, off, s[20:23], 0 offset:976 ; 4-byte Folded Reload
	buffer_load_dword v51, off, s[20:23], 0 offset:980 ; 4-byte Folded Reload
	;; [unrolled: 1-line block ×4, first 2 shown]
	s_movk_i32 s5, 0x4b08
	v_mov_b32_e32 v56, v9
	v_add_u32_e32 v49, 0x1c00, v66
	v_mov_b32_e32 v58, v6
	v_mov_b32_e32 v57, v17
	;; [unrolled: 1-line block ×11, first 2 shown]
	s_waitcnt vmcnt(3)
	v_add_co_u32_e32 v18, vcc, s5, v50
	s_waitcnt vmcnt(0)
	global_load_dwordx2 v[0:1], v[0:1], off offset:2824
	v_addc_co_u32_e32 v19, vcc, 0, v51, vcc
	s_movk_i32 s5, 0x6000
	v_add_co_u32_e32 v20, vcc, s5, v50
	v_addc_co_u32_e32 v21, vcc, 0, v51, vcc
	s_movk_i32 s5, 0x7000
	v_add_co_u32_e32 v14, vcc, s5, v50
	v_addc_co_u32_e32 v15, vcc, 0, v51, vcc
	s_mov_b32 s5, 0x8000
	s_waitcnt vmcnt(0) lgkmcnt(0)
	v_mul_f32_e32 v2, v11, v1
	v_mul_f32_e32 v3, v10, v1
	v_fma_f32 v2, v10, v0, -v2
	v_fmac_f32_e32 v3, v11, v0
	global_load_dwordx2 v[0:1], v[18:19], off offset:2744
	ds_write_b64 v66, v[2:3]
	ds_read2_b64 v[8:11], v97 offset0:38 offset1:87
	ds_read2_b64 v[23:26], v55 offset0:174 offset1:223
	ds_read2_b64 v[4:7], v49 offset0:84 offset1:133
	ds_read2_b64 v[27:30], v17 offset0:92 offset1:141
	ds_read2_b64 v[31:34], v101 offset0:10 offset1:59
	s_waitcnt vmcnt(0) lgkmcnt(4)
	v_mul_f32_e32 v2, v11, v1
	v_mul_f32_e32 v36, v10, v1
	v_fma_f32 v35, v10, v0, -v2
	v_fmac_f32_e32 v36, v11, v0
	global_load_dwordx2 v[0:1], v[20:21], off offset:120
	s_waitcnt vmcnt(0) lgkmcnt(3)
	v_mul_f32_e32 v2, v24, v1
	v_fma_f32 v22, v23, v0, -v2
	v_mul_f32_e32 v23, v23, v1
	v_fmac_f32_e32 v23, v24, v0
	global_load_dwordx2 v[0:1], v[20:21], off offset:2864
	s_waitcnt vmcnt(0) lgkmcnt(2)
	v_mul_f32_e32 v2, v7, v1
	v_mul_f32_e32 v38, v6, v1
	v_fma_f32 v37, v6, v0, -v2
	v_fmac_f32_e32 v38, v7, v0
	global_load_dwordx2 v[0:1], v[14:15], off offset:1512
	v_add_co_u32_e32 v6, vcc, s5, v50
	v_addc_co_u32_e32 v7, vcc, 0, v51, vcc
	global_load_dwordx2 v[10:11], v[6:7], off offset:160
	s_movk_i32 s5, 0x5000
	s_waitcnt vmcnt(1) lgkmcnt(1)
	v_mul_f32_e32 v2, v28, v1
	v_mul_f32_e32 v17, v27, v1
	v_fma_f32 v16, v27, v0, -v2
	v_fmac_f32_e32 v17, v28, v0
	ds_read2_b64 v[0:3], v102 offset0:130 offset1:179
	global_load_dwordx2 v[27:28], v[18:19], off offset:3136
	s_waitcnt vmcnt(1) lgkmcnt(0)
	v_mul_f32_e32 v24, v3, v11
	v_mul_f32_e32 v40, v2, v11
	v_fma_f32 v39, v2, v10, -v24
	v_fmac_f32_e32 v40, v3, v10
	global_load_dwordx2 v[10:11], v[6:7], off offset:2904
	s_waitcnt vmcnt(0)
	v_mul_f32_e32 v2, v32, v11
	v_mul_f32_e32 v3, v31, v11
	v_fma_f32 v2, v31, v10, -v2
	v_fmac_f32_e32 v3, v32, v10
	global_load_dwordx2 v[10:11], v[18:19], off offset:392
	s_waitcnt vmcnt(0)
	v_mul_f32_e32 v24, v13, v11
	v_mul_f32_e32 v42, v12, v11
	v_fma_f32 v41, v12, v10, -v24
	v_fmac_f32_e32 v42, v13, v10
	ds_read2_b64 v[10:13], v97 offset0:136 offset1:185
	s_waitcnt lgkmcnt(0)
	v_mul_f32_e32 v24, v11, v28
	v_mul_f32_e32 v32, v10, v28
	v_fma_f32 v31, v10, v27, -v24
	v_fmac_f32_e32 v32, v11, v27
	global_load_dwordx2 v[10:11], v[20:21], off offset:512
	ds_write2_b64 v97, v[35:36], v[31:32] offset0:87 offset1:136
	s_waitcnt vmcnt(0)
	v_mul_f32_e32 v24, v26, v11
	v_mul_f32_e32 v44, v25, v11
	v_fma_f32 v43, v25, v10, -v24
	v_fmac_f32_e32 v44, v26, v10
	global_load_dwordx2 v[10:11], v[20:21], off offset:3256
	ds_read2_b64 v[24:27], v53 offset0:54 offset1:103
	s_waitcnt vmcnt(0) lgkmcnt(0)
	v_mul_f32_e32 v28, v25, v11
	v_mul_f32_e32 v32, v24, v11
	v_fma_f32 v31, v24, v10, -v28
	v_fmac_f32_e32 v32, v25, v10
	global_load_dwordx2 v[10:11], v[14:15], off offset:1904
	ds_write2_b64 v53, v[37:38], v[31:32] offset0:5 offset1:54
	s_waitcnt vmcnt(0)
	v_mul_f32_e32 v24, v30, v11
	v_mul_f32_e32 v37, v29, v11
	v_fma_f32 v36, v29, v10, -v24
	v_fmac_f32_e32 v37, v30, v10
	global_load_dwordx2 v[10:11], v[6:7], off offset:552
	ds_read2_b64 v[28:31], v45 offset0:100 offset1:149
	s_waitcnt vmcnt(0) lgkmcnt(0)
	;; [unrolled: 14-line block ×3, first 2 shown]
	v_mul_f32_e32 v24, v33, v11
	v_mul_f32_e32 v25, v32, v11
	v_fma_f32 v24, v32, v10, -v24
	v_fmac_f32_e32 v25, v33, v10
	global_load_dwordx2 v[10:11], v[18:19], off offset:3528
	ds_write2_b64 v66, v[41:42], v[24:25] offset0:49 offset1:98
	s_waitcnt vmcnt(0)
	v_mul_f32_e32 v24, v13, v11
	v_fma_f32 v40, v12, v10, -v24
	global_load_dwordx2 v[24:25], v[20:21], off offset:904
	v_mul_f32_e32 v41, v12, v11
	v_fmac_f32_e32 v41, v13, v10
	ds_read2_b64 v[10:13], v58 offset0:16 offset1:65
	s_waitcnt vmcnt(0) lgkmcnt(0)
	v_mul_f32_e32 v28, v11, v25
	v_mul_f32_e32 v29, v10, v25
	v_fma_f32 v28, v10, v24, -v28
	v_fmac_f32_e32 v29, v11, v24
	global_load_dwordx2 v[10:11], v[20:21], off offset:3648
	ds_write2_b64 v52, v[43:44], v[28:29] offset0:95 offset1:144
	s_waitcnt vmcnt(0)
	v_mul_f32_e32 v24, v27, v11
	v_mul_f32_e32 v43, v26, v11
	v_fma_f32 v42, v26, v10, -v24
	v_fmac_f32_e32 v43, v27, v10
	global_load_dwordx2 v[10:11], v[14:15], off offset:2296
	ds_read2_b64 v[24:27], v57 offset0:190 offset1:239
	s_waitcnt vmcnt(0) lgkmcnt(0)
	v_mul_f32_e32 v28, v25, v11
	v_mul_f32_e32 v29, v24, v11
	v_fma_f32 v28, v24, v10, -v28
	v_fmac_f32_e32 v29, v25, v10
	global_load_dwordx2 v[10:11], v[6:7], off offset:944
	ds_write2_b64 v57, v[36:37], v[28:29] offset0:141 offset1:190
	s_waitcnt vmcnt(0)
	v_mul_f32_e32 v24, v31, v11
	v_mul_f32_e32 v37, v30, v11
	v_fma_f32 v36, v30, v10, -v24
	v_fmac_f32_e32 v37, v31, v10
	global_load_dwordx2 v[10:11], v[6:7], off offset:3688
	;; [unrolled: 14-line block ×3, first 2 shown]
	ds_read2_b64 v[32:35], v94 offset0:106 offset1:155
	s_waitcnt vmcnt(0) lgkmcnt(0)
	v_mul_f32_e32 v24, v33, v11
	v_mul_f32_e32 v25, v32, v11
	v_fma_f32 v24, v32, v10, -v24
	v_fmac_f32_e32 v25, v33, v10
	global_load_dwordx2 v[10:11], v[20:21], off offset:1296
	ds_write2_b64 v97, v[40:41], v[24:25] offset0:185 offset1:234
	s_waitcnt vmcnt(0)
	v_mul_f32_e32 v24, v13, v11
	v_fma_f32 v40, v12, v10, -v24
	global_load_dwordx2 v[24:25], v[20:21], off offset:4040
	v_mul_f32_e32 v41, v12, v11
	v_fmac_f32_e32 v41, v13, v10
	ds_read2_b64 v[10:13], v53 offset0:152 offset1:201
	s_waitcnt vmcnt(0) lgkmcnt(0)
	v_mul_f32_e32 v28, v11, v25
	v_mul_f32_e32 v29, v10, v25
	v_fma_f32 v28, v10, v24, -v28
	v_fmac_f32_e32 v29, v11, v24
	global_load_dwordx2 v[10:11], v[14:15], off offset:2688
	ds_write2_b64 v53, v[42:43], v[28:29] offset0:103 offset1:152
	s_waitcnt vmcnt(0)
	v_mul_f32_e32 v24, v27, v11
	v_mul_f32_e32 v43, v26, v11
	v_fma_f32 v42, v26, v10, -v24
	v_fmac_f32_e32 v43, v27, v10
	global_load_dwordx2 v[10:11], v[6:7], off offset:1336
	ds_read2_b64 v[24:27], v56 offset0:70 offset1:119
	s_waitcnt vmcnt(0) lgkmcnt(0)
	v_mul_f32_e32 v28, v25, v11
	v_mul_f32_e32 v29, v24, v11
	v_fma_f32 v28, v24, v10, -v28
	v_fmac_f32_e32 v29, v25, v10
	global_load_dwordx2 v[10:11], v[6:7], off offset:4080
	ds_write2_b64 v56, v[36:37], v[28:29] offset0:21 offset1:70
	s_waitcnt vmcnt(0)
	v_mul_f32_e32 v24, v31, v11
	v_mul_f32_e32 v37, v30, v11
	v_fma_f32 v36, v30, v10, -v24
	v_fmac_f32_e32 v37, v31, v10
	global_load_dwordx2 v[10:11], v[18:19], off offset:1568
	ds_read2_b64 v[28:31], v66 offset0:196 offset1:245
	s_waitcnt vmcnt(0) lgkmcnt(0)
	v_mul_f32_e32 v24, v29, v11
	v_mul_f32_e32 v25, v28, v11
	v_fma_f32 v24, v28, v10, -v24
	v_fmac_f32_e32 v25, v29, v10
	ds_write2_b64 v66, v[38:39], v[24:25] offset0:147 offset1:196
	v_add_co_u32_e32 v38, vcc, s5, v50
	v_addc_co_u32_e32 v39, vcc, 0, v51, vcc
	global_load_dwordx2 v[10:11], v[38:39], off offset:3040
	s_mov_b32 s5, 0x9000
	s_waitcnt vmcnt(0)
	v_mul_f32_e32 v24, v35, v11
	v_mul_f32_e32 v45, v34, v11
	v_fma_f32 v44, v34, v10, -v24
	v_fmac_f32_e32 v45, v35, v10
	global_load_dwordx2 v[10:11], v[20:21], off offset:1688
	ds_read2_b64 v[32:35], v58 offset0:114 offset1:163
	s_waitcnt vmcnt(0) lgkmcnt(0)
	v_mul_f32_e32 v24, v33, v11
	v_mul_f32_e32 v25, v32, v11
	v_fma_f32 v24, v32, v10, -v24
	v_fmac_f32_e32 v25, v33, v10
	global_load_dwordx2 v[10:11], v[14:15], off offset:336
	ds_write2_b64 v58, v[40:41], v[24:25] offset0:65 offset1:114
	s_waitcnt vmcnt(0)
	v_mul_f32_e32 v24, v13, v11
	v_fma_f32 v40, v12, v10, -v24
	global_load_dwordx2 v[24:25], v[14:15], off offset:3080
	v_mul_f32_e32 v41, v12, v11
	v_fmac_f32_e32 v41, v13, v10
	ds_read2_b64 v[10:13], v102 offset0:32 offset1:81
	s_waitcnt vmcnt(0) lgkmcnt(0)
	v_mul_f32_e32 v28, v11, v25
	v_mul_f32_e32 v29, v10, v25
	v_fma_f32 v28, v10, v24, -v28
	v_fmac_f32_e32 v29, v11, v24
	global_load_dwordx2 v[10:11], v[6:7], off offset:1728
	ds_write2_b64 v46, v[42:43], v[28:29] offset0:111 offset1:160
	s_waitcnt vmcnt(0)
	v_mul_f32_e32 v24, v27, v11
	v_fma_f32 v42, v26, v10, -v24
	v_add_co_u32_e32 v24, vcc, s5, v50
	v_mul_f32_e32 v43, v26, v11
	v_addc_co_u32_e32 v25, vcc, 0, v51, vcc
	v_fmac_f32_e32 v43, v27, v10
	global_load_dwordx2 v[10:11], v[24:25], off offset:376
	ds_read2_b64 v[26:29], v101 offset0:206 offset1:255
	v_mov_b32_e32 v50, v47
	v_mov_b32_e32 v100, v50
	s_waitcnt vmcnt(0) lgkmcnt(0)
	v_mul_f32_e32 v32, v27, v11
	v_mul_f32_e32 v33, v26, v11
	v_fma_f32 v32, v26, v10, -v32
	v_fmac_f32_e32 v33, v27, v10
	global_load_dwordx2 v[10:11], v[18:19], off offset:1960
	ds_write2_b64 v101, v[36:37], v[32:33] offset0:157 offset1:206
	global_load_dwordx2 v[18:19], v[18:19], off offset:2352
	s_waitcnt vmcnt(1)
	v_mul_f32_e32 v26, v31, v11
	v_mul_f32_e32 v27, v30, v11
	v_fma_f32 v26, v30, v10, -v26
	v_fmac_f32_e32 v27, v31, v10
	global_load_dwordx2 v[10:11], v[38:39], off offset:3432
	ds_read2_b64 v[30:33], v55 offset0:76 offset1:125
	s_waitcnt vmcnt(0) lgkmcnt(0)
	v_mul_f32_e32 v36, v31, v11
	v_mul_f32_e32 v37, v30, v11
	v_fma_f32 v36, v30, v10, -v36
	v_fmac_f32_e32 v37, v31, v10
	global_load_dwordx2 v[10:11], v[20:21], off offset:2080
	ds_write2_b64 v55, v[44:45], v[36:37] offset0:27 offset1:76
	s_waitcnt vmcnt(0)
	v_mul_f32_e32 v30, v35, v11
	v_mul_f32_e32 v31, v34, v11
	v_fma_f32 v30, v34, v10, -v30
	v_fmac_f32_e32 v31, v35, v10
	global_load_dwordx2 v[10:11], v[14:15], off offset:728
	ds_read2_b64 v[34:37], v47 offset0:122 offset1:171
	s_waitcnt vmcnt(0) lgkmcnt(0)
	v_mul_f32_e32 v44, v35, v11
	v_mul_f32_e32 v45, v34, v11
	v_fma_f32 v44, v34, v10, -v44
	v_fmac_f32_e32 v45, v35, v10
	global_load_dwordx2 v[10:11], v[14:15], off offset:3472
	ds_write2_b64 v53, v[40:41], v[44:45] offset0:201 offset1:250
	global_load_dwordx2 v[40:41], v[6:7], off offset:2120
	s_waitcnt vmcnt(1)
	v_mul_f32_e32 v34, v13, v11
	v_mul_f32_e32 v35, v12, v11
	v_fma_f32 v34, v12, v10, -v34
	v_fmac_f32_e32 v35, v13, v10
	ds_read2_b64 v[10:13], v56 offset0:168 offset1:217
	s_waitcnt vmcnt(0) lgkmcnt(0)
	v_mul_f32_e32 v44, v11, v41
	v_mul_f32_e32 v45, v10, v41
	v_fma_f32 v44, v10, v40, -v44
	v_fmac_f32_e32 v45, v11, v40
	global_load_dwordx2 v[40:41], v[24:25], off offset:768
	ds_write2_b64 v56, v[42:43], v[44:45] offset0:119 offset1:168
	s_waitcnt vmcnt(0)
	v_mul_f32_e32 v10, v29, v41
	v_mul_f32_e32 v11, v28, v41
	v_fma_f32 v10, v28, v40, -v10
	v_fmac_f32_e32 v11, v29, v40
	v_mul_f32_e32 v28, v9, v19
	v_mul_f32_e32 v29, v8, v19
	v_fma_f32 v28, v8, v18, -v28
	v_fmac_f32_e32 v29, v9, v18
	v_add_u32_e32 v8, 0x400, v66
	ds_write2_b64 v8, v[26:27], v[28:29] offset0:117 offset1:166
	global_load_dwordx2 v[8:9], v[38:39], off offset:3824
	s_waitcnt vmcnt(0)
	v_mul_f32_e32 v18, v33, v9
	v_mul_f32_e32 v19, v32, v9
	v_fma_f32 v18, v32, v8, -v18
	v_fmac_f32_e32 v19, v33, v8
	global_load_dwordx2 v[8:9], v[20:21], off offset:2472
	ds_write2_b64 v55, v[18:19], v[22:23] offset0:125 offset1:174
	s_waitcnt vmcnt(0)
	v_mul_f32_e32 v18, v5, v9
	v_mul_f32_e32 v19, v4, v9
	v_fma_f32 v18, v4, v8, -v18
	v_fmac_f32_e32 v19, v5, v8
	global_load_dwordx2 v[4:5], v[14:15], off offset:1120
	ds_write2_b64 v58, v[30:31], v[18:19] offset0:163 offset1:212
	;; [unrolled: 7-line block ×4, first 2 shown]
	s_waitcnt vmcnt(0)
	v_mul_f32_e32 v4, v13, v1
	v_mul_f32_e32 v5, v12, v1
	v_fma_f32 v4, v12, v0, -v4
	v_fmac_f32_e32 v5, v13, v0
	v_add_u32_e32 v0, 0x3c00, v66
	ds_write2_b64 v0, v[4:5], v[2:3] offset0:89 offset1:138
	global_load_dwordx2 v[2:3], v[24:25], off offset:1160
	ds_read_b64 v[0:1], v66 offset:18816
	s_waitcnt vmcnt(0) lgkmcnt(0)
	v_mul_f32_e32 v4, v1, v3
	v_mul_f32_e32 v5, v0, v3
	v_fma_f32 v4, v0, v2, -v4
	v_fmac_f32_e32 v5, v1, v2
	ds_write2_b64 v48, v[10:11], v[4:5] offset0:127 offset1:176
	s_waitcnt lgkmcnt(0)
	; wave barrier
	s_waitcnt lgkmcnt(0)
	ds_read2_b64 v[62:65], v66 offset1:49
	ds_read2_b64 v[240:243], v97 offset0:38 offset1:87
	ds_read2_b64 v[67:70], v55 offset0:174 offset1:223
	;; [unrolled: 1-line block ×14, first 2 shown]
	s_waitcnt lgkmcnt(8)
	v_add_f32_e32 v83, v242, v75
	v_add_f32_e32 v85, v67, v246
	;; [unrolled: 1-line block ×6, first 2 shown]
	v_sub_f32_e32 v67, v67, v246
	v_add_f32_e32 v88, v255, v72
	v_sub_f32_e32 v71, v71, v254
	v_add_f32_e32 v90, v86, v84
	v_sub_f32_e32 v91, v85, v83
	v_sub_f32_e32 v83, v83, v87
	;; [unrolled: 1-line block ×3, first 2 shown]
	v_add_f32_e32 v87, v87, v89
	v_sub_f32_e32 v68, v68, v247
	v_sub_f32_e32 v72, v72, v255
	;; [unrolled: 1-line block ×6, first 2 shown]
	v_add_f32_e32 v88, v88, v90
	v_add_f32_e32 v254, v87, v62
	v_sub_f32_e32 v75, v242, v75
	v_sub_f32_e32 v76, v243, v76
	;; [unrolled: 1-line block ×3, first 2 shown]
	v_add_f32_e32 v255, v88, v63
	v_mul_f32_e32 v89, 0x3f08b237, v95
	v_mov_b32_e32 v95, v254
	v_add_f32_e32 v93, v71, v67
	v_add_f32_e32 v94, v72, v68
	v_sub_f32_e32 v72, v76, v72
	v_sub_f32_e32 v67, v67, v75
	;; [unrolled: 1-line block ×3, first 2 shown]
	v_mul_f32_e32 v62, 0x3f4a47b2, v83
	v_mul_f32_e32 v83, 0x3d64c772, v85
	;; [unrolled: 1-line block ×3, first 2 shown]
	v_fmac_f32_e32 v95, 0xbf955555, v87
	v_mov_b32_e32 v87, v255
	v_sub_f32_e32 v71, v75, v71
	v_add_f32_e32 v75, v93, v75
	v_add_f32_e32 v76, v94, v76
	v_mul_f32_e32 v63, 0x3f4a47b2, v84
	v_mul_f32_e32 v84, 0x3d64c772, v86
	;; [unrolled: 1-line block ×4, first 2 shown]
	v_fmac_f32_e32 v87, 0xbf955555, v88
	v_fma_f32 v83, v91, s3, -v83
	v_fma_f32 v88, v91, s4, -v62
	v_fmac_f32_e32 v62, 0x3d64c772, v85
	v_fma_f32 v68, v68, s2, -v90
	v_fmac_f32_e32 v90, 0xbeae86e6, v72
	v_fma_f32 v84, v92, s3, -v84
	v_fma_f32 v85, v92, s4, -v63
	v_fmac_f32_e32 v63, 0x3d64c772, v86
	v_fma_f32 v67, v67, s2, -v89
	v_fmac_f32_e32 v89, 0xbeae86e6, v71
	v_fmac_f32_e32 v93, 0x3eae86e6, v71
	v_add_f32_e32 v62, v62, v95
	v_add_f32_e32 v71, v83, v95
	v_fmac_f32_e32 v90, 0xbee1c552, v76
	v_fmac_f32_e32 v68, 0xbee1c552, v76
	;; [unrolled: 1-line block ×3, first 2 shown]
	v_add_f32_e32 v63, v63, v87
	v_add_f32_e32 v72, v84, v87
	;; [unrolled: 1-line block ×4, first 2 shown]
	v_fmac_f32_e32 v89, 0xbee1c552, v75
	v_fmac_f32_e32 v67, 0xbee1c552, v75
	v_add_f32_e32 v108, v62, v90
	v_sub_f32_e32 v91, v71, v68
	v_add_f32_e32 v95, v68, v71
	v_sub_f32_e32 v87, v62, v90
	s_waitcnt lgkmcnt(7)
	v_add_f32_e32 v62, v79, v77
	s_waitcnt lgkmcnt(5)
	v_add_f32_e32 v71, v69, v0
	v_sub_f32_e32 v109, v63, v89
	v_add_f32_e32 v92, v67, v72
	v_sub_f32_e32 v96, v72, v67
	v_add_f32_e32 v88, v89, v63
	v_add_f32_e32 v63, v80, v78
	;; [unrolled: 1-line block ×3, first 2 shown]
	v_sub_f32_e32 v0, v69, v0
	v_add_f32_e32 v69, v4, v73
	v_sub_f32_e32 v4, v73, v4
	v_add_f32_e32 v73, v71, v62
	v_fmac_f32_e32 v93, 0xbee1c552, v75
	v_fmac_f32_e32 v94, 0xbee1c552, v76
	v_sub_f32_e32 v67, v79, v77
	v_sub_f32_e32 v1, v70, v1
	v_add_f32_e32 v70, v5, v74
	v_sub_f32_e32 v5, v74, v5
	v_add_f32_e32 v74, v72, v63
	v_sub_f32_e32 v75, v71, v62
	v_sub_f32_e32 v62, v62, v69
	;; [unrolled: 1-line block ×3, first 2 shown]
	v_add_f32_e32 v69, v69, v73
	v_add_f32_e32 v110, v94, v83
	v_sub_f32_e32 v85, v83, v94
	v_sub_f32_e32 v68, v80, v78
	;; [unrolled: 1-line block ×5, first 2 shown]
	v_add_f32_e32 v77, v4, v0
	v_sub_f32_e32 v79, v4, v0
	v_sub_f32_e32 v83, v67, v4
	v_add_f32_e32 v70, v70, v74
	v_add_f32_e32 v4, v69, v64
	v_sub_f32_e32 v111, v84, v93
	v_add_f32_e32 v86, v93, v84
	v_add_f32_e32 v78, v5, v1
	v_sub_f32_e32 v80, v5, v1
	v_sub_f32_e32 v84, v68, v5
	v_add_f32_e32 v5, v70, v65
	v_mul_f32_e32 v73, 0x3f08b237, v79
	v_mov_b32_e32 v79, v4
	v_sub_f32_e32 v0, v0, v67
	v_sub_f32_e32 v1, v1, v68
	v_mul_f32_e32 v62, 0x3f4a47b2, v62
	v_mul_f32_e32 v65, 0x3d64c772, v72
	;; [unrolled: 1-line block ×3, first 2 shown]
	v_fmac_f32_e32 v79, 0xbf955555, v69
	v_mov_b32_e32 v69, v5
	v_add_f32_e32 v67, v77, v67
	v_add_f32_e32 v68, v78, v68
	v_mul_f32_e32 v63, 0x3f4a47b2, v63
	v_mul_f32_e32 v64, 0x3d64c772, v71
	;; [unrolled: 1-line block ×4, first 2 shown]
	v_fmac_f32_e32 v69, 0xbf955555, v70
	v_fma_f32 v65, v76, s3, -v65
	v_fma_f32 v70, v75, s4, -v62
	v_fmac_f32_e32 v62, 0x3d64c772, v71
	v_fma_f32 v0, v0, s2, -v73
	v_fma_f32 v1, v1, s2, -v74
	;; [unrolled: 3-line block ×3, first 2 shown]
	v_fmac_f32_e32 v63, 0x3d64c772, v72
	v_fmac_f32_e32 v73, 0xbeae86e6, v83
	v_add_f32_e32 v62, v62, v79
	v_add_f32_e32 v65, v65, v69
	v_fmac_f32_e32 v74, 0xbee1c552, v68
	v_fmac_f32_e32 v0, 0xbee1c552, v67
	v_add_f32_e32 v63, v63, v69
	v_add_f32_e32 v64, v64, v79
	;; [unrolled: 4-line block ×3, first 2 shown]
	v_sub_f32_e32 v113, v65, v0
	v_sub_f32_e32 v89, v62, v74
	s_waitcnt lgkmcnt(1)
	v_add_f32_e32 v0, v81, v8
	v_add_f32_e32 v62, v12, v2
	v_fmac_f32_e32 v77, 0x3eae86e6, v83
	v_sub_f32_e32 v247, v63, v73
	v_sub_f32_e32 v93, v64, v1
	v_add_f32_e32 v112, v1, v64
	v_add_f32_e32 v90, v73, v63
	;; [unrolled: 1-line block ×4, first 2 shown]
	v_sub_f32_e32 v2, v12, v2
	v_add_f32_e32 v12, v6, v16
	v_sub_f32_e32 v6, v16, v6
	v_add_f32_e32 v16, v62, v0
	v_fmac_f32_e32 v78, 0x3eae86e6, v84
	v_add_f32_e32 v69, v71, v69
	v_fmac_f32_e32 v77, 0xbee1c552, v67
	v_sub_f32_e32 v8, v81, v8
	v_sub_f32_e32 v3, v13, v3
	v_add_f32_e32 v13, v7, v17
	v_sub_f32_e32 v7, v17, v7
	v_add_f32_e32 v17, v63, v1
	v_sub_f32_e32 v64, v62, v0
	v_sub_f32_e32 v67, v0, v12
	;; [unrolled: 1-line block ×3, first 2 shown]
	v_add_f32_e32 v0, v6, v2
	v_add_f32_e32 v12, v12, v16
	;; [unrolled: 1-line block ×3, first 2 shown]
	v_fmac_f32_e32 v78, 0xbee1c552, v68
	v_sub_f32_e32 v243, v69, v77
	v_add_f32_e32 v84, v77, v69
	v_sub_f32_e32 v9, v82, v9
	v_sub_f32_e32 v65, v63, v1
	;; [unrolled: 1-line block ×4, first 2 shown]
	v_add_f32_e32 v1, v7, v3
	v_sub_f32_e32 v69, v6, v2
	v_sub_f32_e32 v6, v8, v6
	;; [unrolled: 1-line block ×3, first 2 shown]
	v_add_f32_e32 v13, v13, v17
	v_add_f32_e32 v8, v0, v8
	;; [unrolled: 1-line block ×4, first 2 shown]
	v_sub_f32_e32 v83, v70, v78
	v_sub_f32_e32 v70, v7, v3
	;; [unrolled: 1-line block ×4, first 2 shown]
	v_add_f32_e32 v9, v1, v9
	v_add_f32_e32 v1, v13, v53
	v_mov_b32_e32 v71, v0
	v_mul_f32_e32 v16, 0x3f4a47b2, v67
	v_mul_f32_e32 v17, 0x3f4a47b2, v68
	;; [unrolled: 1-line block ×7, first 2 shown]
	v_fmac_f32_e32 v71, 0xbf955555, v12
	v_mov_b32_e32 v12, v1
	v_mul_f32_e32 v70, 0x3f5ff5aa, v3
	v_fmac_f32_e32 v12, 0xbf955555, v13
	v_fma_f32 v13, v64, s3, -v52
	v_fma_f32 v52, v65, s3, -v53
	;; [unrolled: 1-line block ×3, first 2 shown]
	v_fmac_f32_e32 v16, 0x3d64c772, v62
	v_fma_f32 v62, v65, s4, -v17
	v_fma_f32 v3, v3, s2, -v68
	v_fmac_f32_e32 v69, 0x3eae86e6, v6
	v_fmac_f32_e32 v17, 0x3d64c772, v63
	v_fma_f32 v2, v2, s2, -v67
	v_fmac_f32_e32 v67, 0xbeae86e6, v6
	v_add_f32_e32 v13, v13, v71
	v_add_f32_e32 v62, v62, v12
	v_fmac_f32_e32 v3, 0xbee1c552, v9
	v_fmac_f32_e32 v69, 0xbee1c552, v8
	ds_read2_b64 v[28:31], v104 offset0:152 offset1:201
	ds_read2_b64 v[24:27], v56 offset0:70 offset1:119
	;; [unrolled: 1-line block ×8, first 2 shown]
	v_fmac_f32_e32 v68, 0xbeae86e6, v7
	v_fmac_f32_e32 v70, 0x3eae86e6, v7
	v_add_f32_e32 v7, v17, v12
	v_add_f32_e32 v63, v52, v12
	;; [unrolled: 1-line block ×3, first 2 shown]
	v_fmac_f32_e32 v67, 0xbee1c552, v8
	v_fmac_f32_e32 v2, 0xbee1c552, v8
	v_sub_f32_e32 v53, v62, v69
	v_sub_f32_e32 v8, v13, v3
	v_add_f32_e32 v12, v3, v13
	v_add_f32_e32 v3, v69, v62
	s_waitcnt lgkmcnt(8)
	v_add_f32_e32 v62, v20, v10
	v_sub_f32_e32 v10, v20, v10
	s_waitcnt lgkmcnt(6)
	v_add_f32_e32 v20, v14, v24
	v_fmac_f32_e32 v68, 0xbee1c552, v9
	v_fmac_f32_e32 v70, 0xbee1c552, v9
	v_add_f32_e32 v9, v2, v63
	v_sub_f32_e32 v13, v63, v2
	v_add_f32_e32 v63, v21, v11
	v_sub_f32_e32 v11, v21, v11
	;; [unrolled: 2-line block ×4, first 2 shown]
	v_add_f32_e32 v28, v20, v62
	v_add_f32_e32 v52, v70, v64
	v_sub_f32_e32 v2, v64, v70
	v_sub_f32_e32 v15, v15, v25
	v_add_f32_e32 v25, v29, v19
	v_sub_f32_e32 v19, v19, v29
	v_add_f32_e32 v29, v21, v63
	v_sub_f32_e32 v64, v20, v62
	v_sub_f32_e32 v62, v62, v24
	;; [unrolled: 1-line block ×3, first 2 shown]
	v_add_f32_e32 v24, v24, v28
	v_add_f32_e32 v6, v16, v71
	v_sub_f32_e32 v65, v21, v63
	v_sub_f32_e32 v63, v63, v25
	;; [unrolled: 1-line block ×3, first 2 shown]
	v_add_f32_e32 v25, v25, v29
	v_add_f32_e32 v54, v24, v54
	;; [unrolled: 1-line block ×3, first 2 shown]
	v_sub_f32_e32 v17, v7, v67
	v_sub_f32_e32 v6, v6, v68
	v_add_f32_e32 v7, v67, v7
	v_add_f32_e32 v67, v18, v14
	;; [unrolled: 1-line block ×3, first 2 shown]
	v_sub_f32_e32 v69, v18, v14
	v_sub_f32_e32 v70, v19, v15
	v_add_f32_e32 v55, v25, v55
	v_mov_b32_e32 v71, v54
	v_sub_f32_e32 v18, v10, v18
	v_sub_f32_e32 v19, v11, v19
	;; [unrolled: 1-line block ×4, first 2 shown]
	v_add_f32_e32 v10, v67, v10
	v_add_f32_e32 v11, v68, v11
	v_mul_f32_e32 v28, 0x3f4a47b2, v62
	v_mul_f32_e32 v29, 0x3f4a47b2, v63
	;; [unrolled: 1-line block ×6, first 2 shown]
	v_fmac_f32_e32 v71, 0xbf955555, v24
	v_mov_b32_e32 v24, v55
	v_mul_f32_e32 v69, 0x3f5ff5aa, v14
	v_mul_f32_e32 v70, 0x3f5ff5aa, v15
	v_fmac_f32_e32 v24, 0xbf955555, v25
	v_fma_f32 v25, v64, s3, -v62
	v_fma_f32 v62, v65, s3, -v63
	;; [unrolled: 1-line block ×5, first 2 shown]
	v_fmac_f32_e32 v28, 0x3d64c772, v20
	v_fma_f32 v20, v65, s4, -v29
	v_fmac_f32_e32 v29, 0x3d64c772, v21
	v_fmac_f32_e32 v70, 0x3eae86e6, v19
	v_add_f32_e32 v21, v25, v71
	v_add_f32_e32 v62, v62, v24
	v_fmac_f32_e32 v14, 0xbee1c552, v10
	v_fmac_f32_e32 v15, 0xbee1c552, v11
	;; [unrolled: 1-line block ×5, first 2 shown]
	v_add_f32_e32 v64, v28, v71
	v_add_f32_e32 v63, v63, v71
	;; [unrolled: 1-line block ×3, first 2 shown]
	v_fmac_f32_e32 v70, 0xbee1c552, v11
	v_sub_f32_e32 v18, v21, v15
	v_add_f32_e32 v19, v14, v62
	v_add_f32_e32 v20, v15, v21
	v_sub_f32_e32 v21, v62, v14
	s_waitcnt lgkmcnt(2)
	v_add_f32_e32 v62, v22, v32
	v_sub_f32_e32 v22, v22, v32
	v_add_f32_e32 v32, v36, v26
	v_fmac_f32_e32 v67, 0xbee1c552, v10
	v_fmac_f32_e32 v68, 0xbee1c552, v11
	;; [unrolled: 1-line block ×3, first 2 shown]
	v_add_f32_e32 v28, v70, v63
	v_sub_f32_e32 v10, v63, v70
	v_add_f32_e32 v63, v23, v33
	v_sub_f32_e32 v23, v23, v33
	;; [unrolled: 2-line block ×4, first 2 shown]
	v_add_f32_e32 v40, v32, v62
	v_add_f32_e32 v65, v29, v24
	;; [unrolled: 1-line block ×3, first 2 shown]
	v_sub_f32_e32 v14, v64, v68
	v_sub_f32_e32 v27, v37, v27
	v_add_f32_e32 v37, v31, v41
	v_sub_f32_e32 v31, v41, v31
	v_add_f32_e32 v41, v33, v63
	v_sub_f32_e32 v64, v32, v62
	v_sub_f32_e32 v62, v62, v36
	;; [unrolled: 1-line block ×3, first 2 shown]
	v_add_f32_e32 v36, v36, v40
	v_sub_f32_e32 v25, v65, v67
	v_add_f32_e32 v15, v67, v65
	v_sub_f32_e32 v65, v33, v63
	v_sub_f32_e32 v63, v63, v37
	;; [unrolled: 1-line block ×3, first 2 shown]
	v_add_f32_e32 v37, v37, v41
	v_add_f32_e32 v56, v36, v56
	ds_read2_b64 v[48:51], v115 offset0:168 offset1:217
	ds_read_b64 v[60:61], v66 offset:18816
	v_sub_f32_e32 v29, v71, v69
	v_add_f32_e32 v11, v69, v71
	v_add_f32_e32 v67, v30, v26
	;; [unrolled: 1-line block ×3, first 2 shown]
	v_sub_f32_e32 v69, v30, v26
	v_sub_f32_e32 v70, v31, v27
	v_add_f32_e32 v57, v37, v57
	v_mov_b32_e32 v71, v56
	v_sub_f32_e32 v30, v22, v30
	v_sub_f32_e32 v31, v23, v31
	;; [unrolled: 1-line block ×4, first 2 shown]
	v_add_f32_e32 v22, v67, v22
	v_add_f32_e32 v23, v68, v23
	v_mul_f32_e32 v40, 0x3f4a47b2, v62
	v_mul_f32_e32 v41, 0x3f4a47b2, v63
	;; [unrolled: 1-line block ×6, first 2 shown]
	v_fmac_f32_e32 v71, 0xbf955555, v36
	v_mov_b32_e32 v36, v57
	v_mul_f32_e32 v69, 0x3f5ff5aa, v26
	v_mul_f32_e32 v70, 0x3f5ff5aa, v27
	v_fmac_f32_e32 v36, 0xbf955555, v37
	v_fma_f32 v37, v64, s3, -v62
	v_fma_f32 v62, v65, s3, -v63
	;; [unrolled: 1-line block ×5, first 2 shown]
	v_fmac_f32_e32 v40, 0x3d64c772, v32
	v_fma_f32 v32, v65, s4, -v41
	v_fmac_f32_e32 v41, 0x3d64c772, v33
	v_fmac_f32_e32 v68, 0xbeae86e6, v31
	;; [unrolled: 1-line block ×3, first 2 shown]
	v_add_f32_e32 v33, v37, v71
	v_add_f32_e32 v62, v62, v36
	v_fmac_f32_e32 v26, 0xbee1c552, v22
	v_fmac_f32_e32 v27, 0xbee1c552, v23
	;; [unrolled: 1-line block ×4, first 2 shown]
	v_add_f32_e32 v64, v40, v71
	v_add_f32_e32 v63, v63, v71
	;; [unrolled: 1-line block ×3, first 2 shown]
	v_fmac_f32_e32 v68, 0xbee1c552, v23
	v_fmac_f32_e32 v70, 0xbee1c552, v23
	v_sub_f32_e32 v30, v33, v27
	v_add_f32_e32 v31, v26, v62
	v_add_f32_e32 v32, v27, v33
	v_sub_f32_e32 v33, v62, v26
	s_waitcnt lgkmcnt(3)
	v_add_f32_e32 v62, v44, v34
	v_sub_f32_e32 v34, v44, v34
	s_waitcnt lgkmcnt(1)
	v_add_f32_e32 v44, v38, v48
	v_add_f32_e32 v65, v41, v36
	v_fmac_f32_e32 v67, 0xbee1c552, v22
	v_fmac_f32_e32 v69, 0xbee1c552, v22
	v_add_f32_e32 v36, v64, v68
	v_add_f32_e32 v40, v70, v63
	v_sub_f32_e32 v22, v63, v70
	v_sub_f32_e32 v26, v64, v68
	v_add_f32_e32 v63, v45, v35
	v_sub_f32_e32 v35, v45, v35
	v_add_f32_e32 v45, v39, v49
	;; [unrolled: 2-line block ×4, first 2 shown]
	v_sub_f32_e32 v37, v65, v67
	v_sub_f32_e32 v41, v71, v69
	v_add_f32_e32 v23, v69, v71
	v_add_f32_e32 v27, v67, v65
	v_sub_f32_e32 v39, v39, v49
	v_add_f32_e32 v49, v249, v43
	v_sub_f32_e32 v43, v43, v249
	;; [unrolled: 2-line block ×3, first 2 shown]
	v_sub_f32_e32 v69, v62, v48
	v_sub_f32_e32 v44, v48, v44
	v_add_f32_e32 v62, v42, v38
	v_add_f32_e32 v48, v48, v64
	v_sub_f32_e32 v68, v45, v63
	v_sub_f32_e32 v70, v63, v49
	;; [unrolled: 1-line block ×3, first 2 shown]
	v_add_f32_e32 v63, v43, v39
	v_sub_f32_e32 v71, v42, v38
	v_sub_f32_e32 v42, v34, v42
	;; [unrolled: 1-line block ×3, first 2 shown]
	v_add_f32_e32 v49, v49, v65
	v_add_f32_e32 v34, v62, v34
	;; [unrolled: 1-line block ×3, first 2 shown]
	v_sub_f32_e32 v72, v43, v39
	v_sub_f32_e32 v43, v35, v43
	;; [unrolled: 1-line block ×3, first 2 shown]
	v_add_f32_e32 v35, v63, v35
	v_add_f32_e32 v63, v49, v59
	v_mov_b32_e32 v73, v62
	v_mul_f32_e32 v58, 0x3f4a47b2, v69
	v_mul_f32_e32 v59, 0x3f4a47b2, v70
	;; [unrolled: 1-line block ×6, first 2 shown]
	v_fmac_f32_e32 v73, 0xbf955555, v48
	v_mov_b32_e32 v48, v63
	v_mul_f32_e32 v71, 0x3f5ff5aa, v38
	v_mul_f32_e32 v72, 0x3f5ff5aa, v39
	v_fmac_f32_e32 v48, 0xbf955555, v49
	v_fma_f32 v49, v67, s3, -v64
	v_fma_f32 v64, v68, s3, -v65
	;; [unrolled: 1-line block ×5, first 2 shown]
	v_fmac_f32_e32 v58, 0x3d64c772, v44
	v_fma_f32 v44, v68, s4, -v59
	v_fmac_f32_e32 v59, 0x3d64c772, v45
	v_fmac_f32_e32 v70, 0xbeae86e6, v43
	;; [unrolled: 1-line block ×4, first 2 shown]
	v_add_f32_e32 v45, v49, v73
	v_add_f32_e32 v64, v64, v48
	v_fmac_f32_e32 v38, 0xbee1c552, v34
	v_fmac_f32_e32 v39, 0xbee1c552, v35
	;; [unrolled: 1-line block ×3, first 2 shown]
	v_add_f32_e32 v67, v58, v73
	v_add_f32_e32 v65, v65, v73
	;; [unrolled: 1-line block ×3, first 2 shown]
	v_fmac_f32_e32 v70, 0xbee1c552, v35
	v_fmac_f32_e32 v71, 0xbee1c552, v34
	;; [unrolled: 1-line block ×3, first 2 shown]
	v_sub_f32_e32 v42, v45, v39
	v_add_f32_e32 v43, v38, v64
	v_add_f32_e32 v44, v39, v45
	v_sub_f32_e32 v45, v64, v38
	s_waitcnt lgkmcnt(0)
	v_add_f32_e32 v64, v46, v60
	v_sub_f32_e32 v46, v46, v60
	v_add_f32_e32 v60, v252, v50
	v_add_f32_e32 v68, v59, v48
	v_fmac_f32_e32 v69, 0xbee1c552, v34
	v_add_f32_e32 v48, v67, v70
	v_add_f32_e32 v58, v72, v65
	v_sub_f32_e32 v59, v73, v71
	v_sub_f32_e32 v34, v65, v72
	v_add_f32_e32 v35, v71, v73
	v_sub_f32_e32 v38, v67, v70
	v_add_f32_e32 v65, v47, v61
	;; [unrolled: 2-line block ×3, first 2 shown]
	v_add_f32_e32 v67, v250, v244
	v_add_f32_e32 v71, v60, v64
	v_sub_f32_e32 v49, v68, v69
	v_add_f32_e32 v39, v69, v68
	v_sub_f32_e32 v51, v253, v51
	v_add_f32_e32 v68, v251, v245
	v_sub_f32_e32 v70, v245, v251
	v_add_f32_e32 v72, v61, v65
	v_sub_f32_e32 v73, v60, v64
	v_sub_f32_e32 v64, v64, v67
	v_sub_f32_e32 v60, v67, v60
	v_add_f32_e32 v67, v67, v71
	v_sub_f32_e32 v50, v252, v50
	v_sub_f32_e32 v69, v244, v250
	;; [unrolled: 1-line block ×5, first 2 shown]
	v_add_f32_e32 v76, v70, v51
	v_sub_f32_e32 v78, v70, v51
	v_sub_f32_e32 v79, v47, v70
	v_add_f32_e32 v68, v68, v72
	v_add_f32_e32 v70, v67, v240
	;; [unrolled: 1-line block ×3, first 2 shown]
	v_sub_f32_e32 v77, v69, v50
	v_sub_f32_e32 v50, v50, v46
	;; [unrolled: 1-line block ×3, first 2 shown]
	v_add_f32_e32 v47, v76, v47
	v_add_f32_e32 v71, v68, v241
	v_mov_b32_e32 v76, v70
	v_sub_f32_e32 v69, v46, v69
	v_add_f32_e32 v46, v75, v46
	v_mul_f32_e32 v64, 0x3f4a47b2, v64
	v_mul_f32_e32 v65, 0x3f4a47b2, v65
	;; [unrolled: 1-line block ×5, first 2 shown]
	v_fmac_f32_e32 v76, 0xbf955555, v67
	v_mov_b32_e32 v67, v71
	v_mul_f32_e32 v78, 0x3f08b237, v78
	v_mul_f32_e32 v82, 0x3f5ff5aa, v51
	v_fmac_f32_e32 v67, 0xbf955555, v68
	v_fma_f32 v68, v73, s3, -v72
	v_fma_f32 v72, v74, s3, -v75
	;; [unrolled: 1-line block ×3, first 2 shown]
	v_fmac_f32_e32 v64, 0x3d64c772, v60
	v_fma_f32 v60, v74, s4, -v65
	v_fmac_f32_e32 v65, 0x3d64c772, v61
	v_fmac_f32_e32 v81, 0x3eae86e6, v69
	v_mul_f32_e32 v80, 0x3f08b237, v77
	v_fma_f32 v51, v51, s2, -v78
	v_fmac_f32_e32 v78, 0xbeae86e6, v79
	v_fmac_f32_e32 v82, 0x3eae86e6, v79
	v_add_f32_e32 v75, v65, v67
	v_add_f32_e32 v65, v72, v67
	;; [unrolled: 1-line block ×3, first 2 shown]
	v_fmac_f32_e32 v81, 0xbee1c552, v46
	v_fma_f32 v50, v50, s2, -v80
	v_fmac_f32_e32 v80, 0xbeae86e6, v69
	v_fmac_f32_e32 v78, 0xbee1c552, v47
	;; [unrolled: 1-line block ×4, first 2 shown]
	v_sub_f32_e32 v69, v67, v81
	v_add_f32_e32 v47, v81, v67
	s_waitcnt lgkmcnt(0)
	; wave barrier
	buffer_load_dword v67, off, s[20:23], 0 offset:972 ; 4-byte Folded Reload
	s_waitcnt vmcnt(0)
	ds_write_b64 v67, v[254:255]
	ds_write2_b64 v67, v[108:109], v[110:111] offset0:1 offset1:2
	ds_write2_b64 v67, v[91:92], v[95:96] offset0:3 offset1:4
	ds_write2_b64 v67, v[85:86], v[87:88] offset0:5 offset1:6
	buffer_load_dword v67, off, s[20:23], 0 offset:968 ; 4-byte Folded Reload
	s_waitcnt vmcnt(0)
	ds_write_b64 v67, v[4:5]
	ds_write2_b64 v67, v[246:247], v[242:243] offset0:1 offset1:2
	ds_write2_b64 v67, v[93:94], v[112:113] offset0:3 offset1:4
	ds_write2_b64 v67, v[83:84], v[89:90] offset0:5 offset1:6
	;; [unrolled: 6-line block ×6, first 2 shown]
	buffer_load_dword v0, off, s[20:23], 0 offset:864 ; 4-byte Folded Reload
	v_add_f32_e32 v74, v64, v76
	v_add_f32_e32 v64, v68, v76
	v_fmac_f32_e32 v80, 0xbee1c552, v46
	v_fmac_f32_e32 v50, 0xbee1c552, v46
	v_add_f32_e32 v72, v73, v76
	v_add_f32_e32 v76, v74, v78
	v_sub_f32_e32 v77, v75, v80
	v_sub_f32_e32 v60, v64, v51
	v_add_f32_e32 v61, v50, v65
	v_add_f32_e32 v64, v51, v64
	v_sub_f32_e32 v65, v65, v50
	v_sub_f32_e32 v50, v74, v78
	v_add_f32_e32 v51, v80, v75
	v_add_f32_e32 v68, v82, v72
	v_sub_f32_e32 v46, v72, v82
	s_waitcnt vmcnt(0)
	ds_write_b64 v0, v[70:71]
	ds_write2_b64 v0, v[76:77], v[68:69] offset0:1 offset1:2
	ds_write2_b64 v0, v[60:61], v[64:65] offset0:3 offset1:4
	;; [unrolled: 1-line block ×3, first 2 shown]
	s_waitcnt lgkmcnt(0)
	; wave barrier
	s_waitcnt lgkmcnt(0)
	ds_read2_b64 v[111:114], v66 offset1:49
	ds_read2_b64 v[240:243], v97 offset0:38 offset1:87
	ds_read2_b64 v[14:17], v106 offset0:174 offset1:223
	;; [unrolled: 1-line block ×23, first 2 shown]
	ds_read_b64 v[4:5], v66 offset:18816
	buffer_load_dword v8, off, s[20:23], 0 offset:712 ; 4-byte Folded Reload
	buffer_load_dword v9, off, s[20:23], 0 offset:716 ; 4-byte Folded Reload
	;; [unrolled: 1-line block ×8, first 2 shown]
	s_waitcnt lgkmcnt(11)
	v_mul_f32_e32 v39, v131, v62
	s_waitcnt lgkmcnt(4)
	v_mul_f32_e32 v67, v179, v96
	v_mul_f32_e32 v38, v131, v63
	v_fma_f32 v39, v130, v63, -v39
	v_mul_f32_e32 v46, v155, v60
	v_fma_f32 v69, v178, v97, -v67
	s_waitcnt lgkmcnt(3)
	v_mul_f32_e32 v67, v229, v102
	v_fma_f32 v46, v154, v61, -v46
	v_fmac_f32_e32 v38, v130, v62
	v_mul_f32_e32 v62, v193, v77
	v_mul_f32_e32 v68, v179, v97
	;; [unrolled: 1-line block ×5, first 2 shown]
	v_fmac_f32_e32 v100, v238, v54
	v_mul_f32_e32 v54, v239, v54
	v_fmac_f32_e32 v52, v150, v64
	v_fma_f32 v53, v150, v65, -v53
	v_mul_f32_e32 v64, v177, v85
	v_mul_f32_e32 v65, v177, v84
	v_fmac_f32_e32 v64, v176, v84
	v_fma_f32 v65, v176, v85, -v65
	v_mul_f32_e32 v85, v235, v71
	v_fmac_f32_e32 v85, v234, v70
	v_fmac_f32_e32 v62, v192, v76
	v_fmac_f32_e32 v68, v178, v96
	v_mul_f32_e32 v96, v223, v99
	v_fmac_f32_e32 v96, v222, v98
	s_waitcnt vmcnt(6)
	v_mul_f32_e32 v6, v9, v242
	v_mul_f32_e32 v12, v9, v243
	v_fma_f32 v13, v8, v243, -v6
	s_waitcnt vmcnt(4)
	v_mul_f32_e32 v9, v11, v15
	v_mul_f32_e32 v6, v11, v14
	v_fmac_f32_e32 v12, v8, v242
	v_fmac_f32_e32 v9, v10, v14
	v_fma_f32 v11, v10, v15, -v6
	s_waitcnt vmcnt(2)
	v_mul_f32_e32 v6, v19, v57
	v_mul_f32_e32 v7, v19, v56
	s_waitcnt vmcnt(0)
	v_mul_f32_e32 v8, v21, v23
	v_mul_f32_e32 v10, v21, v22
	v_fmac_f32_e32 v6, v18, v56
	v_fma_f32 v7, v18, v57, -v7
	v_fmac_f32_e32 v8, v20, v22
	v_fma_f32 v10, v20, v23, -v10
	buffer_load_dword v18, off, s[20:23], 0 offset:728 ; 4-byte Folded Reload
	buffer_load_dword v19, off, s[20:23], 0 offset:732 ; 4-byte Folded Reload
	;; [unrolled: 1-line block ×8, first 2 shown]
	v_mul_f32_e32 v56, v193, v76
	v_fma_f32 v63, v192, v77, -v56
	v_mul_f32_e32 v56, v195, v88
	s_waitcnt lgkmcnt(2)
	v_mul_f32_e32 v76, v225, v108
	v_mul_f32_e32 v57, v185, v80
	v_fma_f32 v57, v184, v81, -v57
	v_fmac_f32_e32 v76, v224, v107
	v_add_u32_e32 v192, 0xc00, v66
	v_add_u32_e32 v193, 0x2400, v66
	s_waitcnt vmcnt(6)
	v_mul_f32_e32 v14, v19, v73
	v_mul_f32_e32 v15, v19, v72
	v_fmac_f32_e32 v14, v18, v72
	v_fma_f32 v15, v18, v73, -v15
	s_waitcnt vmcnt(4)
	v_mul_f32_e32 v18, v21, v26
	s_waitcnt vmcnt(0)
	v_mul_f32_e32 v19, v3, v17
	v_fma_f32 v41, v20, v27, -v18
	v_mul_f32_e32 v22, v1, v31
	v_mul_f32_e32 v18, v1, v30
	v_fmac_f32_e32 v19, v2, v16
	v_mul_f32_e32 v16, v3, v16
	v_mul_f32_e32 v40, v21, v27
	v_fmac_f32_e32 v22, v0, v30
	v_fma_f32 v23, v0, v31, -v18
	v_fma_f32 v21, v2, v17, -v16
	buffer_load_dword v0, off, s[20:23], 0 offset:800 ; 4-byte Folded Reload
	buffer_load_dword v1, off, s[20:23], 0 offset:804 ; 4-byte Folded Reload
	;; [unrolled: 1-line block ×4, first 2 shown]
	v_fmac_f32_e32 v40, v20, v26
	v_mul_f32_e32 v30, v139, v59
	v_mul_f32_e32 v31, v147, v49
	v_fmac_f32_e32 v31, v146, v48
	v_fmac_f32_e32 v30, v138, v58
	s_waitcnt vmcnt(2)
	v_mul_f32_e32 v16, v1, v35
	v_mul_f32_e32 v17, v1, v34
	s_waitcnt vmcnt(0)
	v_mul_f32_e32 v18, v3, v25
	v_mul_f32_e32 v20, v3, v24
	v_fmac_f32_e32 v16, v0, v34
	v_fma_f32 v17, v0, v35, -v17
	v_fmac_f32_e32 v18, v2, v24
	v_fma_f32 v20, v2, v25, -v20
	buffer_load_dword v0, off, s[20:23], 0 offset:816 ; 4-byte Folded Reload
	buffer_load_dword v1, off, s[20:23], 0 offset:820 ; 4-byte Folded Reload
	;; [unrolled: 1-line block ×4, first 2 shown]
	v_mul_f32_e32 v34, v145, v33
	v_fmac_f32_e32 v34, v144, v32
	s_waitcnt lgkmcnt(0)
	; wave barrier
	s_waitcnt vmcnt(0) lgkmcnt(0)
	v_mul_f32_e32 v26, v3, v29
	v_fmac_f32_e32 v26, v2, v28
	v_mul_f32_e32 v27, v3, v28
	v_mul_f32_e32 v28, v145, v32
	v_fma_f32 v35, v144, v33, -v28
	v_mul_f32_e32 v28, v147, v48
	v_fma_f32 v33, v146, v49, -v28
	;; [unrolled: 2-line block ×3, first 2 shown]
	v_fmac_f32_e32 v28, v136, v36
	v_mul_f32_e32 v29, v137, v36
	v_mul_f32_e32 v32, v139, v58
	;; [unrolled: 1-line block ×3, first 2 shown]
	v_fma_f32 v29, v136, v37, -v29
	v_fma_f32 v32, v138, v59, -v32
	v_fmac_f32_e32 v36, v128, v44
	v_mul_f32_e32 v37, v129, v44
	v_mul_f32_e32 v44, v155, v61
	;; [unrolled: 1-line block ×3, first 2 shown]
	v_fma_f32 v61, v194, v89, -v56
	v_fma_f32 v89, v228, v103, -v67
	v_mul_f32_e32 v67, v231, v90
	v_mul_f32_e32 v24, v1, v43
	v_fma_f32 v87, v230, v91, -v67
	v_mul_f32_e32 v67, v225, v107
	v_fmac_f32_e32 v24, v0, v42
	v_mul_f32_e32 v25, v1, v42
	v_mul_f32_e32 v42, v165, v74
	v_fma_f32 v77, v224, v108, -v67
	v_mul_f32_e32 v67, v227, v94
	v_fma_f32 v25, v0, v43, -v25
	v_fma_f32 v49, v164, v75, -v42
	v_mul_f32_e32 v42, v167, v50
	v_mul_f32_e32 v43, v153, v78
	v_fma_f32 v86, v226, v95, -v67
	v_mul_f32_e32 v67, v221, v252
	v_fma_f32 v47, v166, v51, -v42
	;; [unrolled: 2-line block ×3, first 2 shown]
	v_fmac_f32_e32 v59, v194, v88
	v_mul_f32_e32 v88, v229, v103
	v_mul_f32_e32 v79, v231, v91
	v_fma_f32 v91, v220, v253, -v67
	v_mul_f32_e32 v67, v223, v98
	v_mul_f32_e32 v103, v237, v105
	v_fma_f32 v97, v222, v99, -v67
	v_fmac_f32_e32 v103, v236, v104
	v_mul_f32_e32 v67, v237, v104
	v_mul_f32_e32 v104, v175, v5
	v_fmac_f32_e32 v104, v174, v4
	v_mul_f32_e32 v4, v175, v4
	v_fma_f32 v37, v128, v45, -v37
	v_fmac_f32_e32 v88, v228, v102
	v_fma_f32 v102, v238, v55, -v54
	v_mul_f32_e32 v54, v233, v109
	v_fma_f32 v128, v174, v5, -v4
	v_add_f32_e32 v4, v12, v40
	v_sub_f32_e32 v12, v12, v40
	v_add_f32_e32 v40, v9, v14
	v_fma_f32 v84, v232, v110, -v54
	v_mul_f32_e32 v54, v235, v70
	v_add_f32_e32 v5, v13, v41
	v_sub_f32_e32 v13, v13, v41
	v_add_f32_e32 v41, v11, v15
	v_sub_f32_e32 v9, v9, v14
	;; [unrolled: 2-line block ×3, first 2 shown]
	v_add_f32_e32 v8, v40, v4
	v_fma_f32 v101, v234, v71, -v54
	v_mul_f32_e32 v54, v173, v254
	v_sub_f32_e32 v11, v11, v15
	v_add_f32_e32 v15, v7, v10
	v_sub_f32_e32 v7, v10, v7
	v_add_f32_e32 v10, v41, v5
	v_add_f32_e32 v70, v6, v9
	;; [unrolled: 1-line block ×3, first 2 shown]
	v_mul_f32_e32 v48, v165, v75
	v_fma_f32 v108, v236, v105, -v67
	v_mul_f32_e32 v67, v233, v110
	v_fma_f32 v110, v172, v255, -v54
	v_sub_f32_e32 v54, v40, v4
	v_sub_f32_e32 v4, v4, v14
	;; [unrolled: 1-line block ×3, first 2 shown]
	v_add_f32_e32 v71, v7, v11
	v_sub_f32_e32 v72, v6, v9
	v_sub_f32_e32 v6, v12, v6
	;; [unrolled: 1-line block ×3, first 2 shown]
	v_add_f32_e32 v10, v15, v10
	v_add_f32_e32 v14, v70, v12
	;; [unrolled: 1-line block ×3, first 2 shown]
	v_fmac_f32_e32 v48, v164, v74
	v_sub_f32_e32 v55, v41, v5
	v_sub_f32_e32 v5, v5, v15
	v_sub_f32_e32 v41, v15, v41
	v_sub_f32_e32 v73, v7, v11
	v_sub_f32_e32 v7, v13, v7
	v_sub_f32_e32 v11, v11, v13
	v_add_f32_e32 v15, v71, v13
	v_add_f32_e32 v13, v10, v112
	v_mov_b32_e32 v74, v12
	v_mul_f32_e32 v0, 0x3f4a47b2, v4
	v_mul_f32_e32 v1, 0x3f4a47b2, v5
	v_mul_f32_e32 v5, 0x3d64c772, v41
	v_mul_f32_e32 v70, 0x3f08b237, v72
	v_fmac_f32_e32 v74, 0xbf955555, v8
	v_mov_b32_e32 v8, v13
	v_mul_f32_e32 v4, 0x3d64c772, v40
	v_mul_f32_e32 v71, 0x3f08b237, v73
	;; [unrolled: 1-line block ×3, first 2 shown]
	v_fmac_f32_e32 v8, 0xbf955555, v10
	v_fma_f32 v5, v55, s3, -v5
	v_fma_f32 v10, v54, s4, -v0
	v_fmac_f32_e32 v0, 0x3d64c772, v40
	v_fma_f32 v40, v55, s4, -v1
	v_fmac_f32_e32 v1, 0x3d64c772, v41
	v_fma_f32 v41, v9, s2, -v70
	v_fma_f32 v4, v54, s3, -v4
	;; [unrolled: 1-line block ×3, first 2 shown]
	v_fmac_f32_e32 v71, 0xbeae86e6, v7
	v_fmac_f32_e32 v73, 0x3eae86e6, v7
	v_add_f32_e32 v5, v5, v8
	v_add_f32_e32 v7, v40, v8
	v_fmac_f32_e32 v41, 0xbee1c552, v14
	v_add_f32_e32 v40, v22, v26
	v_sub_f32_e32 v22, v22, v26
	v_add_f32_e32 v26, v19, v24
	v_add_f32_e32 v11, v41, v5
	v_sub_f32_e32 v5, v5, v41
	v_add_f32_e32 v41, v23, v27
	v_sub_f32_e32 v23, v23, v27
	;; [unrolled: 2-line block ×4, first 2 shown]
	v_add_f32_e32 v18, v26, v40
	v_mul_f32_e32 v72, 0x3f5ff5aa, v9
	v_add_f32_e32 v4, v4, v74
	v_fmac_f32_e32 v54, 0xbee1c552, v15
	v_sub_f32_e32 v21, v21, v25
	v_add_f32_e32 v25, v17, v20
	v_sub_f32_e32 v17, v20, v17
	v_add_f32_e32 v20, v27, v41
	v_add_f32_e32 v18, v24, v18
	v_fmac_f32_e32 v70, 0xbeae86e6, v6
	v_fmac_f32_e32 v72, 0x3eae86e6, v6
	v_add_f32_e32 v0, v0, v74
	v_add_f32_e32 v6, v10, v74
	v_fmac_f32_e32 v71, 0xbee1c552, v15
	v_fmac_f32_e32 v73, 0xbee1c552, v15
	v_sub_f32_e32 v10, v4, v54
	v_add_f32_e32 v4, v54, v4
	v_sub_f32_e32 v54, v26, v40
	v_sub_f32_e32 v40, v40, v24
	;; [unrolled: 1-line block ×3, first 2 shown]
	v_add_f32_e32 v20, v25, v20
	v_add_f32_e32 v24, v18, v113
	;; [unrolled: 1-line block ×3, first 2 shown]
	v_fmac_f32_e32 v70, 0xbee1c552, v14
	v_fmac_f32_e32 v72, 0xbee1c552, v14
	v_add_f32_e32 v14, v71, v0
	v_add_f32_e32 v8, v73, v6
	v_sub_f32_e32 v6, v6, v73
	v_sub_f32_e32 v0, v0, v71
	;; [unrolled: 1-line block ×5, first 2 shown]
	v_add_f32_e32 v71, v17, v21
	v_sub_f32_e32 v73, v17, v21
	v_sub_f32_e32 v21, v21, v23
	v_add_f32_e32 v25, v20, v114
	v_mov_b32_e32 v74, v24
	v_sub_f32_e32 v15, v1, v70
	v_sub_f32_e32 v9, v7, v72
	v_add_f32_e32 v7, v72, v7
	v_add_f32_e32 v1, v70, v1
	v_add_f32_e32 v70, v16, v19
	v_sub_f32_e32 v72, v16, v19
	v_sub_f32_e32 v17, v23, v17
	v_sub_f32_e32 v19, v19, v22
	v_add_f32_e32 v23, v71, v23
	v_mul_f32_e32 v2, 0x3f4a47b2, v40
	v_mul_f32_e32 v3, 0x3f4a47b2, v41
	;; [unrolled: 1-line block ×6, first 2 shown]
	v_fmac_f32_e32 v74, 0xbf955555, v18
	v_mov_b32_e32 v18, v25
	v_sub_f32_e32 v16, v22, v16
	v_add_f32_e32 v22, v70, v22
	v_mul_f32_e32 v70, 0x3f08b237, v72
	v_mul_f32_e32 v72, 0x3f5ff5aa, v19
	v_fmac_f32_e32 v18, 0xbf955555, v20
	v_fma_f32 v20, v54, s3, -v40
	v_fma_f32 v40, v55, s3, -v41
	;; [unrolled: 1-line block ×3, first 2 shown]
	v_fmac_f32_e32 v73, 0x3eae86e6, v17
	v_fmac_f32_e32 v2, 0x3d64c772, v26
	v_fma_f32 v26, v55, s4, -v3
	v_fmac_f32_e32 v3, 0x3d64c772, v27
	v_fma_f32 v19, v19, s2, -v70
	v_fma_f32 v54, v21, s2, -v71
	v_fmac_f32_e32 v71, 0xbeae86e6, v17
	v_fmac_f32_e32 v72, 0x3eae86e6, v16
	v_add_f32_e32 v17, v40, v18
	v_add_f32_e32 v40, v41, v74
	v_fmac_f32_e32 v73, 0xbee1c552, v23
	v_fmac_f32_e32 v70, 0xbeae86e6, v16
	v_add_f32_e32 v3, v3, v18
	v_add_f32_e32 v16, v20, v74
	;; [unrolled: 1-line block ×3, first 2 shown]
	v_fmac_f32_e32 v19, 0xbee1c552, v22
	v_fmac_f32_e32 v72, 0xbee1c552, v22
	v_add_f32_e32 v20, v73, v40
	v_sub_f32_e32 v18, v40, v73
	v_add_f32_e32 v40, v34, v38
	v_sub_f32_e32 v34, v34, v38
	v_add_f32_e32 v38, v31, v36
	v_fmac_f32_e32 v70, 0xbee1c552, v22
	v_fmac_f32_e32 v71, 0xbee1c552, v23
	;; [unrolled: 1-line block ×3, first 2 shown]
	v_sub_f32_e32 v21, v41, v72
	v_add_f32_e32 v23, v19, v17
	v_sub_f32_e32 v17, v17, v19
	v_add_f32_e32 v19, v72, v41
	v_add_f32_e32 v41, v35, v39
	v_sub_f32_e32 v35, v35, v39
	v_add_f32_e32 v39, v33, v37
	v_sub_f32_e32 v31, v31, v36
	;; [unrolled: 2-line block ×3, first 2 shown]
	v_add_f32_e32 v30, v38, v40
	v_add_f32_e32 v2, v2, v74
	v_sub_f32_e32 v27, v3, v70
	v_sub_f32_e32 v22, v16, v54
	v_add_f32_e32 v16, v54, v16
	v_add_f32_e32 v3, v70, v3
	v_sub_f32_e32 v33, v33, v37
	v_add_f32_e32 v37, v29, v32
	v_sub_f32_e32 v29, v32, v29
	v_add_f32_e32 v32, v39, v41
	v_sub_f32_e32 v54, v38, v40
	v_sub_f32_e32 v70, v36, v38
	v_add_f32_e32 v38, v28, v31
	v_add_f32_e32 v30, v36, v30
	v_mul_f32_e32 v56, v185, v81
	v_add_f32_e32 v26, v71, v2
	v_sub_f32_e32 v2, v2, v71
	v_sub_f32_e32 v55, v39, v41
	;; [unrolled: 1-line block ×3, first 2 shown]
	v_add_f32_e32 v39, v29, v33
	v_sub_f32_e32 v72, v28, v31
	v_sub_f32_e32 v28, v34, v28
	;; [unrolled: 1-line block ×3, first 2 shown]
	v_add_f32_e32 v32, v37, v32
	v_add_f32_e32 v34, v38, v34
	v_add_f32_e32 v38, v30, v248
	v_fmac_f32_e32 v56, v184, v80
	v_sub_f32_e32 v40, v40, v36
	v_sub_f32_e32 v41, v41, v37
	;; [unrolled: 1-line block ×5, first 2 shown]
	v_add_f32_e32 v35, v39, v35
	v_add_f32_e32 v39, v32, v249
	v_mov_b32_e32 v80, v38
	v_mul_f32_e32 v45, v167, v51
	v_mul_f32_e32 v36, 0x3f4a47b2, v40
	v_mul_f32_e32 v37, 0x3f4a47b2, v41
	v_mul_f32_e32 v40, 0x3d64c772, v70
	v_mul_f32_e32 v41, 0x3d64c772, v71
	v_mul_f32_e32 v73, 0x3f08b237, v73
	v_mul_f32_e32 v74, 0x3f5ff5aa, v31
	v_fmac_f32_e32 v80, 0xbf955555, v30
	v_mov_b32_e32 v30, v39
	v_fmac_f32_e32 v45, v166, v50
	v_mul_f32_e32 v50, v149, v83
	v_mul_f32_e32 v72, 0x3f08b237, v72
	;; [unrolled: 1-line block ×3, first 2 shown]
	v_fmac_f32_e32 v30, 0xbf955555, v32
	v_fma_f32 v32, v54, s3, -v40
	v_fma_f32 v40, v55, s3, -v41
	;; [unrolled: 1-line block ×5, first 2 shown]
	v_fmac_f32_e32 v74, 0x3eae86e6, v28
	v_fmac_f32_e32 v50, v148, v82
	v_mul_f32_e32 v51, v149, v82
	v_fmac_f32_e32 v36, 0x3d64c772, v70
	v_fmac_f32_e32 v37, 0x3d64c772, v71
	v_fma_f32 v31, v31, s2, -v72
	v_fmac_f32_e32 v73, 0xbeae86e6, v29
	v_fmac_f32_e32 v75, 0x3eae86e6, v29
	v_add_f32_e32 v32, v32, v80
	v_add_f32_e32 v54, v54, v30
	v_fmac_f32_e32 v33, 0xbee1c552, v35
	v_fmac_f32_e32 v74, 0xbee1c552, v34
	;; [unrolled: 1-line block ×4, first 2 shown]
	v_fma_f32 v51, v148, v83, -v51
	v_fmac_f32_e32 v72, 0xbeae86e6, v28
	v_add_f32_e32 v28, v36, v80
	v_add_f32_e32 v29, v37, v30
	v_add_f32_e32 v55, v40, v30
	v_fmac_f32_e32 v73, 0xbee1c552, v35
	v_fmac_f32_e32 v31, 0xbee1c552, v34
	v_fmac_f32_e32 v75, 0xbee1c552, v35
	v_sub_f32_e32 v35, v54, v74
	v_sub_f32_e32 v36, v32, v33
	v_add_f32_e32 v30, v33, v32
	v_add_f32_e32 v33, v74, v54
	;; [unrolled: 1-line block ×3, first 2 shown]
	v_sub_f32_e32 v48, v48, v52
	v_add_f32_e32 v52, v45, v50
	v_add_f32_e32 v70, v41, v80
	v_fmac_f32_e32 v72, 0xbee1c552, v34
	v_add_f32_e32 v37, v31, v55
	v_sub_f32_e32 v31, v55, v31
	v_add_f32_e32 v55, v49, v53
	v_sub_f32_e32 v49, v49, v53
	;; [unrolled: 2-line block ×9, first 2 shown]
	v_sub_f32_e32 v72, v50, v52
	v_add_f32_e32 v52, v42, v45
	v_add_f32_e32 v44, v50, v44
	;; [unrolled: 1-line block ×3, first 2 shown]
	v_sub_f32_e32 v28, v28, v73
	v_sub_f32_e32 v71, v53, v55
	;; [unrolled: 1-line block ×3, first 2 shown]
	v_add_f32_e32 v53, v43, v47
	v_sub_f32_e32 v74, v42, v45
	v_sub_f32_e32 v42, v48, v42
	;; [unrolled: 1-line block ×3, first 2 shown]
	v_add_f32_e32 v46, v51, v46
	v_add_f32_e32 v48, v52, v48
	;; [unrolled: 1-line block ×3, first 2 shown]
	v_sub_f32_e32 v54, v54, v50
	v_sub_f32_e32 v55, v55, v51
	;; [unrolled: 1-line block ×5, first 2 shown]
	v_add_f32_e32 v49, v53, v49
	v_add_f32_e32 v53, v46, v251
	v_mov_b32_e32 v82, v52
	v_mul_f32_e32 v50, 0x3f4a47b2, v54
	v_mul_f32_e32 v51, 0x3f4a47b2, v55
	;; [unrolled: 1-line block ×6, first 2 shown]
	v_fmac_f32_e32 v82, 0xbf955555, v44
	v_mov_b32_e32 v44, v53
	v_mul_f32_e32 v74, 0x3f08b237, v74
	v_mul_f32_e32 v81, 0x3f5ff5aa, v47
	v_fmac_f32_e32 v44, 0xbf955555, v46
	v_fma_f32 v46, v70, s3, -v54
	v_fma_f32 v54, v71, s3, -v55
	;; [unrolled: 1-line block ×5, first 2 shown]
	v_fmac_f32_e32 v80, 0x3eae86e6, v42
	v_mul_f32_e32 v58, v187, v93
	v_fmac_f32_e32 v50, 0x3d64c772, v72
	v_fmac_f32_e32 v51, 0x3d64c772, v73
	v_fma_f32 v45, v45, s2, -v74
	v_fmac_f32_e32 v75, 0xbeae86e6, v43
	v_fmac_f32_e32 v81, 0x3eae86e6, v43
	v_add_f32_e32 v46, v46, v82
	v_add_f32_e32 v70, v70, v44
	v_fmac_f32_e32 v47, 0xbee1c552, v49
	v_fmac_f32_e32 v80, 0xbee1c552, v48
	;; [unrolled: 1-line block ×3, first 2 shown]
	v_mul_f32_e32 v60, v187, v92
	v_fmac_f32_e32 v74, 0xbeae86e6, v42
	v_add_f32_e32 v42, v50, v82
	v_add_f32_e32 v43, v51, v44
	;; [unrolled: 1-line block ×3, first 2 shown]
	v_fmac_f32_e32 v75, 0xbee1c552, v49
	v_fmac_f32_e32 v45, 0xbee1c552, v48
	;; [unrolled: 1-line block ×3, first 2 shown]
	v_sub_f32_e32 v49, v70, v80
	v_sub_f32_e32 v50, v46, v47
	v_add_f32_e32 v44, v47, v46
	v_add_f32_e32 v47, v80, v70
	;; [unrolled: 1-line block ×3, first 2 shown]
	v_sub_f32_e32 v62, v62, v68
	v_add_f32_e32 v68, v59, v64
	v_fma_f32 v60, v186, v93, -v60
	v_add_f32_e32 v72, v55, v82
	v_fmac_f32_e32 v74, 0xbee1c552, v48
	v_add_f32_e32 v51, v45, v71
	v_sub_f32_e32 v45, v71, v45
	v_add_f32_e32 v71, v63, v69
	v_sub_f32_e32 v63, v63, v69
	;; [unrolled: 2-line block ×9, first 2 shown]
	v_sub_f32_e32 v74, v70, v64
	v_add_f32_e32 v70, v56, v59
	v_add_f32_e32 v58, v64, v58
	;; [unrolled: 1-line block ×3, first 2 shown]
	v_sub_f32_e32 v42, v42, v75
	v_sub_f32_e32 v73, v69, v71
	;; [unrolled: 1-line block ×3, first 2 shown]
	v_add_f32_e32 v71, v57, v61
	v_sub_f32_e32 v80, v56, v59
	v_sub_f32_e32 v56, v62, v56
	;; [unrolled: 1-line block ×3, first 2 shown]
	v_add_f32_e32 v60, v65, v60
	v_add_f32_e32 v62, v70, v62
	;; [unrolled: 1-line block ×3, first 2 shown]
	v_sub_f32_e32 v68, v64, v68
	v_sub_f32_e32 v81, v57, v61
	;; [unrolled: 1-line block ×4, first 2 shown]
	v_add_f32_e32 v63, v71, v63
	v_add_f32_e32 v71, v60, v245
	v_mov_b32_e32 v92, v70
	v_sub_f32_e32 v69, v65, v69
	v_mul_f32_e32 v64, 0x3f4a47b2, v74
	v_mul_f32_e32 v65, 0x3f4a47b2, v75
	;; [unrolled: 1-line block ×6, first 2 shown]
	v_fmac_f32_e32 v92, 0xbf955555, v58
	v_mov_b32_e32 v58, v71
	v_fmac_f32_e32 v79, v230, v90
	v_mul_f32_e32 v90, v221, v253
	v_mul_f32_e32 v75, 0x3d64c772, v69
	;; [unrolled: 1-line block ×3, first 2 shown]
	v_fmac_f32_e32 v58, 0xbf955555, v60
	v_fma_f32 v60, v72, s3, -v74
	v_fma_f32 v72, v72, s4, -v64
	v_fmac_f32_e32 v64, 0x3d64c772, v68
	v_fma_f32 v68, v73, s4, -v65
	v_fmac_f32_e32 v65, 0x3d64c772, v69
	;; [unrolled: 2-line block ×4, first 2 shown]
	v_mul_f32_e32 v78, v227, v95
	v_fmac_f32_e32 v90, v220, v252
	v_fma_f32 v74, v73, s3, -v75
	v_fmac_f32_e32 v81, 0xbeae86e6, v57
	v_fmac_f32_e32 v82, 0x3eae86e6, v56
	v_add_f32_e32 v57, v65, v58
	v_add_f32_e32 v60, v60, v92
	;; [unrolled: 1-line block ×3, first 2 shown]
	v_fmac_f32_e32 v80, 0xbee1c552, v62
	v_fmac_f32_e32 v61, 0xbee1c552, v63
	v_fmac_f32_e32 v83, 0xbee1c552, v63
	v_fmac_f32_e32 v78, v226, v94
	v_add_f32_e32 v56, v64, v92
	v_add_f32_e32 v73, v74, v58
	;; [unrolled: 1-line block ×3, first 2 shown]
	v_fmac_f32_e32 v81, 0xbee1c552, v63
	v_fmac_f32_e32 v59, 0xbee1c552, v62
	;; [unrolled: 1-line block ×3, first 2 shown]
	v_sub_f32_e32 v65, v57, v80
	v_add_f32_e32 v62, v83, v72
	v_sub_f32_e32 v68, v60, v61
	v_add_f32_e32 v58, v61, v60
	;; [unrolled: 2-line block ×3, first 2 shown]
	v_add_f32_e32 v72, v88, v96
	v_add_f32_e32 v80, v79, v90
	;; [unrolled: 1-line block ×4, first 2 shown]
	v_sub_f32_e32 v59, v73, v59
	v_sub_f32_e32 v56, v56, v81
	v_add_f32_e32 v73, v89, v97
	v_add_f32_e32 v81, v87, v91
	;; [unrolled: 1-line block ×3, first 2 shown]
	v_sub_f32_e32 v76, v78, v76
	v_add_f32_e32 v78, v80, v72
	v_sub_f32_e32 v63, v74, v82
	v_add_f32_e32 v61, v82, v74
	v_sub_f32_e32 v79, v79, v90
	v_sub_f32_e32 v82, v87, v91
	v_add_f32_e32 v87, v77, v86
	v_sub_f32_e32 v77, v86, v77
	v_add_f32_e32 v86, v81, v73
	v_add_f32_e32 v78, v83, v78
	v_sub_f32_e32 v74, v88, v96
	v_sub_f32_e32 v88, v80, v72
	v_sub_f32_e32 v72, v72, v83
	v_sub_f32_e32 v80, v83, v80
	v_add_f32_e32 v90, v76, v79
	v_add_f32_e32 v83, v87, v86
	;; [unrolled: 1-line block ×3, first 2 shown]
	v_sub_f32_e32 v75, v89, v97
	v_sub_f32_e32 v89, v81, v73
	;; [unrolled: 1-line block ×8, first 2 shown]
	v_add_f32_e32 v74, v90, v74
	v_add_f32_e32 v97, v83, v247
	v_mov_b32_e32 v90, v96
	v_add_f32_e32 v91, v77, v82
	v_sub_f32_e32 v77, v75, v77
	v_sub_f32_e32 v82, v82, v75
	v_mul_f32_e32 v72, 0x3f4a47b2, v72
	v_mul_f32_e32 v73, 0x3f4a47b2, v73
	;; [unrolled: 1-line block ×7, first 2 shown]
	v_fmac_f32_e32 v90, 0xbf955555, v78
	v_mov_b32_e32 v78, v97
	v_fmac_f32_e32 v67, v232, v109
	v_mul_f32_e32 v109, v173, v255
	v_add_f32_e32 v75, v91, v75
	v_mul_f32_e32 v95, 0x3f5ff5aa, v82
	v_fmac_f32_e32 v78, 0xbf955555, v83
	v_fma_f32 v83, v88, s3, -v86
	v_fma_f32 v86, v89, s3, -v87
	v_fma_f32 v87, v88, s4, -v72
	v_fmac_f32_e32 v72, 0x3d64c772, v80
	v_fma_f32 v80, v89, s4, -v73
	v_fmac_f32_e32 v73, 0x3d64c772, v81
	v_fma_f32 v79, v79, s2, -v92
	v_fma_f32 v81, v82, s2, -v93
	v_fmac_f32_e32 v93, 0xbeae86e6, v77
	v_fmac_f32_e32 v94, 0x3eae86e6, v76
	;; [unrolled: 1-line block ×5, first 2 shown]
	v_add_f32_e32 v72, v72, v90
	v_add_f32_e32 v77, v86, v78
	v_add_f32_e32 v80, v80, v78
	v_fmac_f32_e32 v93, 0xbee1c552, v75
	v_fmac_f32_e32 v79, 0xbee1c552, v74
	;; [unrolled: 1-line block ×3, first 2 shown]
	v_add_f32_e32 v73, v73, v78
	v_add_f32_e32 v76, v83, v90
	v_fmac_f32_e32 v92, 0xbee1c552, v74
	v_fmac_f32_e32 v81, 0xbee1c552, v75
	v_add_f32_e32 v98, v93, v72
	v_sub_f32_e32 v89, v80, v94
	v_add_f32_e32 v91, v79, v77
	v_sub_f32_e32 v77, v77, v79
	;; [unrolled: 2-line block ×3, first 2 shown]
	v_add_f32_e32 v72, v103, v104
	v_add_f32_e32 v80, v100, v109
	;; [unrolled: 1-line block ×3, first 2 shown]
	v_sub_f32_e32 v99, v73, v92
	v_sub_f32_e32 v90, v76, v81
	v_add_f32_e32 v76, v81, v76
	v_add_f32_e32 v87, v92, v73
	;; [unrolled: 1-line block ×5, first 2 shown]
	v_sub_f32_e32 v67, v85, v67
	v_add_f32_e32 v85, v80, v72
	v_fmac_f32_e32 v95, 0xbee1c552, v75
	v_sub_f32_e32 v83, v102, v110
	v_add_f32_e32 v93, v84, v101
	v_sub_f32_e32 v84, v101, v84
	v_add_f32_e32 v94, v81, v73
	v_add_f32_e32 v85, v92, v85
	;; [unrolled: 1-line block ×3, first 2 shown]
	v_sub_f32_e32 v78, v82, v95
	v_sub_f32_e32 v75, v108, v128
	;; [unrolled: 1-line block ×6, first 2 shown]
	v_add_f32_e32 v102, v84, v83
	v_add_f32_e32 v92, v93, v94
	;; [unrolled: 1-line block ×3, first 2 shown]
	v_sub_f32_e32 v74, v103, v104
	v_sub_f32_e32 v100, v81, v73
	;; [unrolled: 1-line block ×4, first 2 shown]
	v_add_f32_e32 v101, v67, v82
	v_sub_f32_e32 v103, v67, v82
	v_sub_f32_e32 v104, v84, v83
	;; [unrolled: 1-line block ×4, first 2 shown]
	v_add_f32_e32 v75, v102, v75
	v_add_f32_e32 v131, v92, v241
	v_mov_b32_e32 v102, v130
	v_sub_f32_e32 v67, v74, v67
	v_sub_f32_e32 v82, v82, v74
	v_add_f32_e32 v74, v101, v74
	v_mul_f32_e32 v72, 0x3f4a47b2, v72
	v_mul_f32_e32 v73, 0x3f4a47b2, v73
	;; [unrolled: 1-line block ×6, first 2 shown]
	v_fmac_f32_e32 v102, 0xbf955555, v85
	v_mov_b32_e32 v85, v131
	v_mul_f32_e32 v105, 0x3f5ff5aa, v82
	v_fmac_f32_e32 v85, 0xbf955555, v92
	v_fma_f32 v92, v95, s3, -v93
	v_fma_f32 v93, v100, s3, -v94
	;; [unrolled: 1-line block ×3, first 2 shown]
	v_fmac_f32_e32 v72, 0x3d64c772, v80
	v_fma_f32 v80, v100, s4, -v73
	v_fmac_f32_e32 v73, 0x3d64c772, v81
	v_fma_f32 v81, v82, s2, -v101
	v_fma_f32 v82, v83, s2, -v104
	v_fmac_f32_e32 v104, 0xbeae86e6, v84
	v_mul_f32_e32 v106, 0x3f5ff5aa, v83
	v_fmac_f32_e32 v101, 0xbeae86e6, v67
	v_fmac_f32_e32 v105, 0x3eae86e6, v67
	v_add_f32_e32 v67, v72, v102
	v_fmac_f32_e32 v104, 0xbee1c552, v75
	v_fmac_f32_e32 v106, 0x3eae86e6, v84
	v_add_f32_e32 v84, v104, v67
	v_sub_f32_e32 v100, v67, v104
	buffer_load_dword v67, off, s[20:23], 0 offset:744 ; 4-byte Folded Reload
	s_waitcnt vmcnt(0)
	ds_write2_b64 v67, v[12:13], v[14:15] offset1:7
	ds_write2_b64 v67, v[8:9], v[10:11] offset0:14 offset1:21
	ds_write2_b64 v67, v[4:5], v[6:7] offset0:28 offset1:35
	ds_write_b64 v67, v[0:1] offset:336
	buffer_load_dword v0, off, s[20:23], 0 offset:748 ; 4-byte Folded Reload
	s_waitcnt vmcnt(0)
	ds_write2_b64 v0, v[24:25], v[26:27] offset1:7
	ds_write2_b64 v0, v[20:21], v[22:23] offset0:14 offset1:21
	ds_write2_b64 v0, v[16:17], v[18:19] offset0:28 offset1:35
	ds_write_b64 v0, v[2:3] offset:336
	;; [unrolled: 6-line block ×6, first 2 shown]
	buffer_load_dword v0, off, s[20:23], 0 offset:780 ; 4-byte Folded Reload
	v_add_f32_e32 v72, v73, v85
	v_fmac_f32_e32 v101, 0xbee1c552, v74
	v_add_f32_e32 v73, v92, v102
	v_add_f32_e32 v83, v93, v85
	;; [unrolled: 1-line block ×4, first 2 shown]
	v_fmac_f32_e32 v81, 0xbee1c552, v74
	v_fmac_f32_e32 v82, 0xbee1c552, v75
	;; [unrolled: 1-line block ×4, first 2 shown]
	v_sub_f32_e32 v85, v72, v101
	v_add_u32_e32 v185, 0x800, v66
	v_add_f32_e32 v110, v106, v92
	v_sub_f32_e32 v111, v80, v105
	v_sub_f32_e32 v128, v73, v82
	v_add_f32_e32 v129, v81, v83
	v_add_f32_e32 v102, v82, v73
	v_sub_f32_e32 v103, v83, v81
	v_sub_f32_e32 v108, v92, v106
	v_add_f32_e32 v109, v105, v80
	v_add_f32_e32 v101, v101, v72
	s_waitcnt vmcnt(0)
	ds_write2_b64 v0, v[130:131], v[84:85] offset1:7
	ds_write2_b64 v0, v[110:111], v[128:129] offset0:14 offset1:21
	ds_write2_b64 v0, v[102:103], v[108:109] offset0:28 offset1:35
	ds_write_b64 v0, v[100:101] offset:336
	s_waitcnt lgkmcnt(0)
	; wave barrier
	s_waitcnt lgkmcnt(0)
	ds_read2_b64 v[68:71], v185 offset0:38 offset1:87
	v_add_u32_e32 v112, 0x1000, v66
	ds_read2_b64 v[10:13], v112 offset0:174 offset1:223
	v_add_u32_e32 v195, 0x1c00, v66
	;; [unrolled: 2-line block ×4, first 2 shown]
	ds_read2_b64 v[28:31], v186 offset0:130 offset1:179
	s_waitcnt lgkmcnt(4)
	v_mul_f32_e32 v22, v121, v70
	v_add_u32_e32 v184, 0x4000, v66
	v_mul_f32_e32 v96, v121, v71
	v_fma_f32 v97, v120, v71, -v22
	s_waitcnt lgkmcnt(3)
	v_mul_f32_e32 v71, v123, v11
	ds_read2_b64 v[4:7], v66 offset1:49
	ds_read2_b64 v[18:21], v184 offset0:10 offset1:59
	ds_read2_b64 v[32:35], v185 offset0:136 offset1:185
	v_fmac_f32_e32 v71, v122, v10
	v_mul_f32_e32 v10, v123, v10
	v_fma_f32 v89, v122, v11, -v10
	s_waitcnt lgkmcnt(5)
	v_mul_f32_e32 v10, v125, v26
	v_fma_f32 v57, v124, v27, -v10
	s_waitcnt lgkmcnt(4)
	;; [unrolled: 3-line block ×5, first 2 shown]
	v_mul_f32_e32 v10, v121, v32
	v_add_u32_e32 v114, 0x2000, v66
	v_add_u32_e32 v194, 0x3400, v66
	;; [unrolled: 1-line block ×3, first 2 shown]
	v_fmac_f32_e32 v96, v120, v70
	v_mul_f32_e32 v70, v127, v15
	v_fma_f32 v98, v120, v33, -v10
	v_mul_f32_e32 v87, v123, v13
	v_mul_f32_e32 v10, v123, v12
	ds_read2_b64 v[36:39], v114 offset0:54 offset1:103
	ds_read2_b64 v[40:43], v194 offset0:100 offset1:149
	;; [unrolled: 1-line block ×16, first 2 shown]
	ds_read_b64 v[8:9], v66 offset:18816
	v_fmac_f32_e32 v70, v126, v14
	v_fmac_f32_e32 v87, v122, v12
	v_fma_f32 v90, v122, v13, -v10
	buffer_load_dword v11, off, s[20:23], 0 offset:900 ; 4-byte Folded Reload
	buffer_load_dword v12, off, s[20:23], 0 offset:904 ; 4-byte Folded Reload
	;; [unrolled: 1-line block ×4, first 2 shown]
	s_waitcnt lgkmcnt(14)
	v_mul_f32_e32 v10, v125, v36
	v_fma_f32 v85, v124, v37, -v10
	v_mul_f32_e32 v10, v127, v16
	v_fma_f32 v82, v126, v17, -v10
	;; [unrolled: 2-line block ×5, first 2 shown]
	s_waitcnt lgkmcnt(13)
	v_mul_f32_e32 v10, v143, v44
	v_fma_f32 v62, v142, v45, -v10
	v_mul_f32_e32 v55, v143, v45
	s_waitcnt lgkmcnt(11)
	v_mul_f32_e32 v52, v159, v104
	v_fmac_f32_e32 v52, v158, v103
	v_mul_f32_e32 v99, v133, v31
	v_mul_f32_e32 v80, v135, v19
	v_mul_f32_e32 v56, v125, v27
	v_fmac_f32_e32 v99, v132, v30
	v_fmac_f32_e32 v80, v134, v18
	;; [unrolled: 1-line block ×3, first 2 shown]
	v_mul_f32_e32 v26, v215, v29
	v_mul_f32_e32 v27, v215, v28
	v_fmac_f32_e32 v26, v214, v28
	v_fma_f32 v27, v214, v29, -v27
	v_mul_f32_e32 v91, v121, v33
	v_fmac_f32_e32 v91, v120, v32
	s_waitcnt lgkmcnt(10)
	v_mul_f32_e32 v32, v197, v108
	v_fmac_f32_e32 v32, v196, v107
	v_mul_f32_e32 v83, v133, v41
	v_mul_f32_e32 v95, v135, v21
	;; [unrolled: 1-line block ×4, first 2 shown]
	v_fmac_f32_e32 v83, v132, v40
	v_fmac_f32_e32 v95, v134, v20
	;; [unrolled: 1-line block ×4, first 2 shown]
	v_mul_f32_e32 v54, v141, v35
	v_fmac_f32_e32 v54, v140, v34
	v_fmac_f32_e32 v55, v142, v44
	s_waitcnt lgkmcnt(9)
	v_mul_f32_e32 v44, v161, v129
	v_fmac_f32_e32 v44, v160, v128
	s_waitcnt lgkmcnt(6)
	v_mul_f32_e32 v33, v199, v145
	v_mul_f32_e32 v40, v181, v139
	s_waitcnt lgkmcnt(4)
	v_mul_f32_e32 v60, v183, v153
	v_fmac_f32_e32 v33, v198, v144
	v_mul_f32_e32 v34, v189, v131
	v_fmac_f32_e32 v40, v180, v138
	v_fmac_f32_e32 v60, v182, v152
	;; [unrolled: 1-line block ×3, first 2 shown]
	s_waitcnt lgkmcnt(1)
	v_mul_f32_e32 v18, v201, v177
	v_mul_f32_e32 v30, v203, v155
	;; [unrolled: 1-line block ×3, first 2 shown]
	v_fmac_f32_e32 v18, v200, v176
	v_mul_f32_e32 v19, v201, v176
	v_fmac_f32_e32 v30, v202, v154
	v_mul_f32_e32 v20, v203, v154
	v_mul_f32_e32 v15, v205, v172
	v_fmac_f32_e32 v16, v206, v150
	v_mul_f32_e32 v17, v207, v150
	v_fma_f32 v19, v200, v177, -v19
	v_fma_f32 v31, v202, v155, -v20
	;; [unrolled: 1-line block ×4, first 2 shown]
	v_mul_f32_e32 v21, v217, v166
	v_mul_f32_e32 v20, v217, v167
	v_fma_f32 v23, v216, v167, -v21
	v_mul_f32_e32 v21, v219, v25
	v_mul_f32_e32 v22, v219, v24
	v_fmac_f32_e32 v20, v216, v166
	v_fmac_f32_e32 v21, v218, v24
	v_fma_f32 v24, v218, v25, -v22
	v_mul_f32_e32 v22, v213, v175
	v_fmac_f32_e32 v22, v212, v174
	v_mul_f32_e32 v25, v213, v174
	v_fma_f32 v25, v212, v175, -v25
	s_waitcnt vmcnt(2)
	v_mul_f32_e32 v10, v12, v38
	v_mul_f32_e32 v58, v12, v39
	v_fma_f32 v63, v11, v39, -v10
	s_waitcnt vmcnt(0)
	v_mul_f32_e32 v64, v14, v49
	v_mul_f32_e32 v10, v14, v48
	v_fmac_f32_e32 v58, v11, v38
	v_fmac_f32_e32 v64, v13, v48
	v_fma_f32 v65, v13, v49, -v10
	buffer_load_dword v11, off, s[20:23], 0 offset:920 ; 4-byte Folded Reload
	buffer_load_dword v12, off, s[20:23], 0 offset:924 ; 4-byte Folded Reload
	;; [unrolled: 1-line block ×4, first 2 shown]
	v_mul_f32_e32 v48, v163, v51
	v_fmac_f32_e32 v48, v162, v50
	v_mul_f32_e32 v38, v191, v149
	v_fmac_f32_e32 v38, v190, v148
	s_waitcnt vmcnt(2)
	v_mul_f32_e32 v10, v12, v42
	v_fma_f32 v72, v11, v43, -v10
	s_waitcnt vmcnt(0)
	v_mul_f32_e32 v10, v14, v101
	v_fma_f32 v74, v13, v102, -v10
	v_mul_f32_e32 v10, v169, v105
	v_mul_f32_e32 v67, v12, v43
	v_fma_f32 v45, v168, v106, -v10
	v_mul_f32_e32 v43, v171, v47
	v_mul_f32_e32 v10, v171, v46
	v_fmac_f32_e32 v43, v170, v46
	v_fma_f32 v46, v170, v47, -v10
	v_mul_f32_e32 v10, v161, v128
	v_fma_f32 v47, v160, v129, -v10
	v_mul_f32_e32 v10, v163, v50
	;; [unrolled: 2-line block ×3, first 2 shown]
	v_mul_f32_e32 v73, v14, v102
	v_fma_f32 v51, v156, v137, -v10
	v_mul_f32_e32 v10, v159, v103
	v_fmac_f32_e32 v73, v13, v101
	v_fma_f32 v53, v158, v104, -v10
	buffer_load_dword v101, off, s[20:23], 0 offset:948 ; 4-byte Folded Reload
	buffer_load_dword v102, off, s[20:23], 0 offset:952 ; 4-byte Folded Reload
	;; [unrolled: 1-line block ×4, first 2 shown]
	v_fmac_f32_e32 v67, v11, v42
	v_mul_f32_e32 v42, v169, v106
	v_fmac_f32_e32 v42, v168, v105
	v_mul_f32_e32 v10, v197, v107
	v_fma_f32 v35, v196, v108, -v10
	s_waitcnt lgkmcnt(0)
	; wave barrier
	s_waitcnt lgkmcnt(0)
	v_mul_f32_e32 v50, v157, v137
	v_fmac_f32_e32 v50, v156, v136
	v_mul_f32_e32 v10, v199, v144
	v_fma_f32 v36, v198, v145, -v10
	v_mul_f32_e32 v10, v189, v130
	v_fma_f32 v37, v188, v131, -v10
	;; [unrolled: 2-line block ×5, first 2 shown]
	v_mul_f32_e32 v11, v209, v164
	v_mul_f32_e32 v10, v209, v165
	v_fma_f32 v13, v208, v165, -v11
	v_mul_f32_e32 v11, v211, v147
	v_mul_f32_e32 v12, v211, v146
	v_fmac_f32_e32 v10, v208, v164
	v_fmac_f32_e32 v11, v210, v146
	v_fma_f32 v14, v210, v147, -v12
	v_mul_f32_e32 v12, v205, v173
	v_fmac_f32_e32 v12, v204, v172
	s_waitcnt vmcnt(0)
	v_mov_b32_e32 v92, v103
	v_mov_b32_e32 v93, v104
	v_mul_f32_e32 v104, v93, v9
	v_fmac_f32_e32 v104, v92, v8
	v_mul_f32_e32 v8, v93, v8
	v_fma_f32 v105, v92, v9, -v8
	v_add_f32_e32 v8, v96, v80
	v_add_f32_e32 v92, v71, v99
	;; [unrolled: 1-line block ×3, first 2 shown]
	v_sub_f32_e32 v80, v96, v80
	v_add_f32_e32 v93, v89, v100
	v_add_f32_e32 v96, v56, v70
	v_sub_f32_e32 v56, v70, v56
	v_add_f32_e32 v70, v92, v8
	v_mul_f32_e32 v28, v102, v179
	v_mul_f32_e32 v29, v102, v178
	v_sub_f32_e32 v81, v97, v81
	v_sub_f32_e32 v71, v71, v99
	v_add_f32_e32 v97, v57, v88
	v_sub_f32_e32 v57, v88, v57
	v_add_f32_e32 v88, v93, v9
	v_add_f32_e32 v70, v96, v70
	v_fmac_f32_e32 v28, v101, v178
	v_fma_f32 v29, v101, v179, -v29
	v_sub_f32_e32 v89, v89, v100
	v_sub_f32_e32 v99, v92, v8
	;; [unrolled: 1-line block ×4, first 2 shown]
	v_add_f32_e32 v101, v56, v71
	v_add_f32_e32 v88, v97, v88
	;; [unrolled: 1-line block ×3, first 2 shown]
	v_sub_f32_e32 v100, v93, v9
	v_sub_f32_e32 v9, v9, v97
	;; [unrolled: 1-line block ×3, first 2 shown]
	v_add_f32_e32 v102, v57, v89
	v_sub_f32_e32 v103, v56, v71
	v_sub_f32_e32 v106, v57, v89
	;; [unrolled: 1-line block ×5, first 2 shown]
	v_add_f32_e32 v80, v101, v80
	v_add_f32_e32 v97, v88, v5
	v_mov_b32_e32 v101, v96
	v_sub_f32_e32 v57, v81, v57
	v_add_f32_e32 v81, v102, v81
	v_mul_f32_e32 v4, 0x3f4a47b2, v8
	v_mul_f32_e32 v5, 0x3f4a47b2, v9
	;; [unrolled: 1-line block ×8, first 2 shown]
	v_fmac_f32_e32 v101, 0xbf955555, v70
	v_mov_b32_e32 v70, v97
	v_fmac_f32_e32 v70, 0xbf955555, v88
	v_fma_f32 v8, v99, s3, -v8
	v_fma_f32 v9, v100, s3, -v9
	;; [unrolled: 1-line block ×3, first 2 shown]
	v_fmac_f32_e32 v4, 0x3d64c772, v92
	v_fma_f32 v92, v100, s4, -v5
	v_fmac_f32_e32 v5, 0x3d64c772, v93
	v_fma_f32 v71, v71, s2, -v102
	;; [unrolled: 2-line block ×3, first 2 shown]
	v_fmac_f32_e32 v103, 0xbeae86e6, v57
	v_fmac_f32_e32 v106, 0x3eae86e6, v56
	;; [unrolled: 1-line block ×3, first 2 shown]
	v_add_f32_e32 v4, v4, v101
	v_add_f32_e32 v5, v5, v70
	;; [unrolled: 1-line block ×5, first 2 shown]
	v_fmac_f32_e32 v102, 0xbee1c552, v80
	v_fmac_f32_e32 v103, 0xbee1c552, v81
	;; [unrolled: 1-line block ×5, first 2 shown]
	v_add_f32_e32 v8, v8, v101
	v_fmac_f32_e32 v99, 0xbee1c552, v81
	v_add_f32_e32 v100, v103, v4
	v_sub_f32_e32 v101, v5, v102
	v_add_f32_e32 v88, v107, v56
	v_sub_f32_e32 v89, v57, v106
	;; [unrolled: 2-line block ×3, first 2 shown]
	v_sub_f32_e32 v80, v56, v107
	v_add_f32_e32 v81, v106, v57
	v_sub_f32_e32 v56, v4, v103
	v_add_f32_e32 v57, v102, v5
	v_add_f32_e32 v4, v91, v95
	;; [unrolled: 1-line block ×3, first 2 shown]
	v_sub_f32_e32 v9, v98, v75
	v_add_f32_e32 v75, v87, v83
	v_sub_f32_e32 v92, v8, v99
	v_add_f32_e32 v70, v99, v8
	;; [unrolled: 2-line block ×3, first 2 shown]
	v_sub_f32_e32 v83, v87, v83
	v_sub_f32_e32 v87, v90, v94
	v_add_f32_e32 v90, v84, v86
	v_add_f32_e32 v94, v85, v82
	v_sub_f32_e32 v82, v82, v85
	v_add_f32_e32 v85, v75, v4
	v_sub_f32_e32 v84, v86, v84
	v_add_f32_e32 v86, v91, v5
	v_add_f32_e32 v85, v90, v85
	v_sub_f32_e32 v103, v84, v83
	v_add_f32_e32 v86, v94, v86
	v_add_f32_e32 v126, v85, v6
	v_sub_f32_e32 v95, v75, v4
	v_sub_f32_e32 v98, v91, v5
	;; [unrolled: 1-line block ×6, first 2 shown]
	v_add_f32_e32 v99, v84, v83
	v_add_f32_e32 v102, v82, v87
	v_sub_f32_e32 v106, v82, v87
	v_sub_f32_e32 v83, v83, v8
	v_sub_f32_e32 v87, v87, v9
	v_add_f32_e32 v127, v86, v7
	v_mul_f32_e32 v90, 0x3f08b237, v103
	v_mov_b32_e32 v103, v126
	v_sub_f32_e32 v84, v8, v84
	v_sub_f32_e32 v82, v9, v82
	v_add_f32_e32 v8, v99, v8
	v_add_f32_e32 v9, v102, v9
	v_mul_f32_e32 v4, 0x3f4a47b2, v4
	v_mul_f32_e32 v5, 0x3f4a47b2, v5
	v_mul_f32_e32 v6, 0x3d64c772, v75
	v_mul_f32_e32 v7, 0x3d64c772, v91
	v_mul_f32_e32 v94, 0x3f08b237, v106
	v_mul_f32_e32 v99, 0x3f5ff5aa, v83
	v_mul_f32_e32 v102, 0x3f5ff5aa, v87
	v_fmac_f32_e32 v103, 0xbf955555, v85
	v_mov_b32_e32 v85, v127
	v_fmac_f32_e32 v85, 0xbf955555, v86
	v_fma_f32 v6, v95, s3, -v6
	v_fma_f32 v7, v98, s3, -v7
	v_fma_f32 v86, v95, s4, -v4
	v_fmac_f32_e32 v4, 0x3d64c772, v75
	v_fma_f32 v75, v98, s4, -v5
	v_fmac_f32_e32 v5, 0x3d64c772, v91
	v_fma_f32 v83, v83, s2, -v90
	;; [unrolled: 2-line block ×3, first 2 shown]
	v_fmac_f32_e32 v94, 0xbeae86e6, v82
	v_fmac_f32_e32 v99, 0x3eae86e6, v84
	;; [unrolled: 1-line block ×3, first 2 shown]
	v_add_f32_e32 v4, v4, v103
	v_add_f32_e32 v5, v5, v85
	v_add_f32_e32 v6, v6, v103
	v_add_f32_e32 v7, v7, v85
	v_add_f32_e32 v82, v86, v103
	v_add_f32_e32 v75, v75, v85
	v_fmac_f32_e32 v90, 0xbee1c552, v8
	v_fmac_f32_e32 v94, 0xbee1c552, v9
	;; [unrolled: 1-line block ×6, first 2 shown]
	v_add_f32_e32 v122, v94, v4
	v_sub_f32_e32 v123, v5, v90
	v_add_f32_e32 v124, v102, v82
	v_sub_f32_e32 v125, v75, v99
	v_sub_f32_e32 v110, v6, v87
	v_add_f32_e32 v111, v83, v7
	v_add_f32_e32 v120, v87, v6
	v_sub_f32_e32 v121, v7, v83
	v_sub_f32_e32 v102, v82, v102
	v_add_f32_e32 v103, v99, v75
	v_sub_f32_e32 v108, v4, v94
	v_add_f32_e32 v109, v90, v5
	ds_write2_b64 v66, v[96:97], v[100:101] offset1:49
	ds_write2_b64 v66, v[88:89], v[92:93] offset0:98 offset1:147
	ds_write2_b64 v66, v[70:71], v[80:81] offset0:196 offset1:245
	;; [unrolled: 1-line block ×6, first 2 shown]
	buffer_load_dword v56, off, s[20:23], 0 offset:488 ; 4-byte Folded Reload
	v_add_f32_e32 v4, v54, v73
	v_add_f32_e32 v8, v55, v67
	;; [unrolled: 1-line block ×3, first 2 shown]
	v_sub_f32_e32 v7, v59, v74
	v_add_f32_e32 v9, v62, v72
	v_add_f32_e32 v59, v58, v64
	v_sub_f32_e32 v58, v64, v58
	v_add_f32_e32 v64, v8, v4
	v_sub_f32_e32 v6, v54, v73
	v_sub_f32_e32 v54, v55, v67
	;; [unrolled: 1-line block ×3, first 2 shown]
	v_add_f32_e32 v62, v63, v65
	v_sub_f32_e32 v63, v65, v63
	v_add_f32_e32 v65, v9, v5
	v_sub_f32_e32 v67, v8, v4
	v_sub_f32_e32 v4, v4, v59
	;; [unrolled: 1-line block ×3, first 2 shown]
	v_add_f32_e32 v59, v59, v64
	v_sub_f32_e32 v72, v9, v5
	v_sub_f32_e32 v5, v5, v62
	;; [unrolled: 1-line block ×4, first 2 shown]
	v_add_f32_e32 v62, v62, v65
	v_add_f32_e32 v94, v59, v0
	v_sub_f32_e32 v82, v63, v55
	v_add_f32_e32 v95, v62, v1
	v_mul_f32_e32 v64, 0x3f08b237, v75
	v_mov_b32_e32 v75, v94
	v_add_f32_e32 v73, v58, v54
	v_add_f32_e32 v74, v63, v55
	v_sub_f32_e32 v58, v6, v58
	v_sub_f32_e32 v63, v7, v63
	;; [unrolled: 1-line block ×4, first 2 shown]
	v_mul_f32_e32 v0, 0x3f4a47b2, v4
	v_mul_f32_e32 v1, 0x3f4a47b2, v5
	;; [unrolled: 1-line block ×3, first 2 shown]
	v_fmac_f32_e32 v75, 0xbf955555, v59
	v_mov_b32_e32 v59, v95
	v_add_f32_e32 v6, v73, v6
	v_add_f32_e32 v7, v74, v7
	v_mul_f32_e32 v4, 0x3d64c772, v8
	v_mul_f32_e32 v5, 0x3d64c772, v9
	;; [unrolled: 1-line block ×3, first 2 shown]
	v_fmac_f32_e32 v59, 0xbf955555, v62
	v_fma_f32 v62, v67, s4, -v0
	v_fmac_f32_e32 v0, 0x3d64c772, v8
	v_fma_f32 v8, v72, s4, -v1
	;; [unrolled: 2-line block ×4, first 2 shown]
	v_fmac_f32_e32 v65, 0xbeae86e6, v63
	v_add_f32_e32 v0, v0, v75
	v_add_f32_e32 v1, v1, v59
	v_fmac_f32_e32 v64, 0xbee1c552, v6
	v_fmac_f32_e32 v65, 0xbee1c552, v7
	v_add_f32_e32 v98, v65, v0
	v_sub_f32_e32 v99, v1, v64
	v_mul_f32_e32 v74, 0x3f5ff5aa, v55
	v_fma_f32 v4, v67, s3, -v4
	v_fma_f32 v5, v72, s3, -v5
	v_fmac_f32_e32 v73, 0x3eae86e6, v58
	v_fmac_f32_e32 v74, 0x3eae86e6, v63
	v_add_f32_e32 v4, v4, v75
	v_add_f32_e32 v5, v5, v59
	;; [unrolled: 1-line block ×4, first 2 shown]
	v_fmac_f32_e32 v9, 0xbee1c552, v6
	v_fmac_f32_e32 v54, 0xbee1c552, v7
	v_fmac_f32_e32 v73, 0xbee1c552, v6
	v_fmac_f32_e32 v74, 0xbee1c552, v7
	v_add_f32_e32 v82, v74, v55
	v_sub_f32_e32 v83, v8, v73
	v_sub_f32_e32 v90, v4, v54
	v_add_f32_e32 v91, v9, v5
	v_add_f32_e32 v58, v54, v4
	v_sub_f32_e32 v59, v5, v9
	v_sub_f32_e32 v72, v55, v74
	s_waitcnt vmcnt(0)
	ds_write2_b64 v56, v[94:95], v[98:99] offset0:174 offset1:223
	buffer_load_dword v56, off, s[20:23], 0 offset:496 ; 4-byte Folded Reload
	v_add_f32_e32 v73, v73, v8
	s_waitcnt vmcnt(0)
	ds_write2_b64 v56, v[82:83], v[90:91] offset0:16 offset1:65
	ds_write2_b64 v56, v[58:59], v[72:73] offset0:114 offset1:163
	buffer_load_dword v56, off, s[20:23], 0 offset:492 ; 4-byte Folded Reload
	v_sub_f32_e32 v74, v0, v65
	v_add_f32_e32 v75, v64, v1
	v_add_f32_e32 v0, v42, v52
	;; [unrolled: 1-line block ×4, first 2 shown]
	v_sub_f32_e32 v4, v42, v52
	v_add_f32_e32 v7, v46, v51
	v_sub_f32_e32 v9, v46, v51
	v_add_f32_e32 v42, v44, v48
	v_add_f32_e32 v46, v6, v0
	v_sub_f32_e32 v5, v45, v53
	v_sub_f32_e32 v8, v43, v50
	v_add_f32_e32 v43, v47, v49
	v_sub_f32_e32 v44, v48, v44
	v_sub_f32_e32 v45, v49, v47
	;; [unrolled: 3-line block ×3, first 2 shown]
	v_sub_f32_e32 v6, v42, v6
	v_add_f32_e32 v42, v42, v46
	v_sub_f32_e32 v49, v7, v1
	v_sub_f32_e32 v1, v1, v43
	;; [unrolled: 1-line block ×3, first 2 shown]
	v_add_f32_e32 v50, v44, v8
	v_add_f32_e32 v43, v43, v47
	;; [unrolled: 1-line block ×3, first 2 shown]
	v_sub_f32_e32 v54, v44, v8
	v_sub_f32_e32 v55, v45, v9
	;; [unrolled: 1-line block ×4, first 2 shown]
	v_add_f32_e32 v4, v50, v4
	v_add_f32_e32 v53, v43, v3
	v_mov_b32_e32 v50, v52
	v_add_f32_e32 v51, v45, v9
	v_sub_f32_e32 v45, v5, v45
	v_sub_f32_e32 v9, v9, v5
	v_mul_f32_e32 v0, 0x3f4a47b2, v0
	v_mul_f32_e32 v1, 0x3f4a47b2, v1
	;; [unrolled: 1-line block ×4, first 2 shown]
	v_fmac_f32_e32 v50, 0xbf955555, v42
	v_mov_b32_e32 v42, v53
	v_add_f32_e32 v5, v51, v5
	v_mul_f32_e32 v2, 0x3d64c772, v6
	v_mul_f32_e32 v3, 0x3d64c772, v7
	;; [unrolled: 1-line block ×4, first 2 shown]
	v_fmac_f32_e32 v42, 0xbf955555, v43
	v_fma_f32 v43, v48, s4, -v0
	v_fmac_f32_e32 v0, 0x3d64c772, v6
	v_fma_f32 v6, v49, s4, -v1
	;; [unrolled: 2-line block ×5, first 2 shown]
	v_fma_f32 v3, v49, s3, -v3
	v_fmac_f32_e32 v62, 0x3eae86e6, v44
	v_fmac_f32_e32 v63, 0x3eae86e6, v45
	v_add_f32_e32 v0, v0, v50
	v_add_f32_e32 v1, v1, v42
	v_fmac_f32_e32 v47, 0xbee1c552, v4
	v_fmac_f32_e32 v46, 0xbee1c552, v5
	v_add_f32_e32 v2, v2, v50
	v_add_f32_e32 v3, v3, v42
	;; [unrolled: 1-line block ×4, first 2 shown]
	v_fmac_f32_e32 v7, 0xbee1c552, v4
	v_fmac_f32_e32 v8, 0xbee1c552, v5
	;; [unrolled: 1-line block ×4, first 2 shown]
	v_add_f32_e32 v54, v46, v0
	v_sub_f32_e32 v55, v1, v47
	v_add_f32_e32 v48, v63, v9
	v_sub_f32_e32 v49, v6, v62
	v_sub_f32_e32 v50, v2, v8
	v_add_f32_e32 v51, v7, v3
	v_add_f32_e32 v42, v8, v2
	s_waitcnt vmcnt(0)
	ds_write_b64 v56, v[74:75] offset:7840
	buffer_load_dword v56, off, s[20:23], 0 offset:564 ; 4-byte Folded Reload
	v_sub_f32_e32 v43, v3, v7
	v_sub_f32_e32 v44, v9, v63
	v_add_f32_e32 v45, v62, v6
	s_waitcnt vmcnt(0)
	ds_write2_b64 v56, v[52:53], v[54:55] offset0:5 offset1:54
	ds_write2_b64 v56, v[48:49], v[50:51] offset0:103 offset1:152
	;; [unrolled: 1-line block ×3, first 2 shown]
	buffer_load_dword v42, off, s[20:23], 0 offset:484 ; 4-byte Folded Reload
	v_sub_f32_e32 v46, v0, v46
	v_add_f32_e32 v47, v47, v1
	v_add_f32_e32 v0, v32, v60
	;; [unrolled: 1-line block ×4, first 2 shown]
	v_sub_f32_e32 v2, v32, v60
	v_add_f32_e32 v5, v36, v41
	v_sub_f32_e32 v6, v33, v40
	v_add_f32_e32 v8, v34, v38
	;; [unrolled: 2-line block ×3, first 2 shown]
	v_sub_f32_e32 v3, v35, v61
	v_sub_f32_e32 v7, v36, v41
	v_add_f32_e32 v9, v37, v39
	v_sub_f32_e32 v33, v39, v37
	v_add_f32_e32 v35, v5, v1
	v_sub_f32_e32 v36, v4, v0
	v_sub_f32_e32 v0, v0, v8
	;; [unrolled: 1-line block ×3, first 2 shown]
	v_add_f32_e32 v38, v32, v6
	v_add_f32_e32 v8, v8, v34
	v_sub_f32_e32 v37, v5, v1
	v_sub_f32_e32 v1, v1, v9
	;; [unrolled: 1-line block ×3, first 2 shown]
	v_add_f32_e32 v39, v33, v7
	v_sub_f32_e32 v40, v32, v6
	v_sub_f32_e32 v32, v2, v32
	;; [unrolled: 1-line block ×3, first 2 shown]
	v_add_f32_e32 v9, v9, v35
	v_add_f32_e32 v2, v38, v2
	;; [unrolled: 1-line block ×3, first 2 shown]
	v_sub_f32_e32 v41, v33, v7
	v_sub_f32_e32 v33, v3, v33
	v_sub_f32_e32 v7, v7, v3
	v_add_f32_e32 v3, v39, v3
	v_add_f32_e32 v39, v9, v77
	v_mul_f32_e32 v60, 0x3f08b237, v40
	v_mov_b32_e32 v40, v38
	v_mul_f32_e32 v0, 0x3f4a47b2, v0
	v_mul_f32_e32 v1, 0x3f4a47b2, v1
	;; [unrolled: 1-line block ×5, first 2 shown]
	v_fmac_f32_e32 v40, 0xbf955555, v8
	v_mov_b32_e32 v8, v39
	v_mul_f32_e32 v62, 0x3f5ff5aa, v6
	v_mul_f32_e32 v63, 0x3f5ff5aa, v7
	v_fmac_f32_e32 v8, 0xbf955555, v9
	v_fma_f32 v9, v36, s3, -v34
	v_fma_f32 v34, v37, s3, -v35
	;; [unrolled: 1-line block ×3, first 2 shown]
	v_fmac_f32_e32 v0, 0x3d64c772, v4
	v_fma_f32 v4, v37, s4, -v1
	v_fmac_f32_e32 v1, 0x3d64c772, v5
	v_fma_f32 v5, v6, s2, -v60
	;; [unrolled: 2-line block ×3, first 2 shown]
	v_fmac_f32_e32 v61, 0xbeae86e6, v33
	v_fmac_f32_e32 v62, 0x3eae86e6, v32
	;; [unrolled: 1-line block ×3, first 2 shown]
	v_add_f32_e32 v7, v0, v40
	v_add_f32_e32 v32, v1, v8
	v_fmac_f32_e32 v60, 0xbee1c552, v2
	v_fmac_f32_e32 v61, 0xbee1c552, v3
	v_add_f32_e32 v0, v9, v40
	v_add_f32_e32 v1, v34, v8
	;; [unrolled: 1-line block ×4, first 2 shown]
	v_fmac_f32_e32 v5, 0xbee1c552, v2
	v_fmac_f32_e32 v6, 0xbee1c552, v3
	;; [unrolled: 1-line block ×4, first 2 shown]
	v_add_f32_e32 v40, v61, v7
	v_sub_f32_e32 v41, v32, v60
	v_add_f32_e32 v34, v63, v9
	v_sub_f32_e32 v35, v8, v62
	v_sub_f32_e32 v36, v0, v6
	v_add_f32_e32 v37, v5, v1
	v_add_f32_e32 v0, v6, v0
	s_waitcnt vmcnt(0)
	ds_write_b64 v42, v[46:47] offset:10584
	buffer_load_dword v42, off, s[20:23], 0 offset:480 ; 4-byte Folded Reload
	s_waitcnt vmcnt(0)
	ds_write2_b64 v42, v[38:39], v[40:41] offset0:92 offset1:141
	ds_write2_b64 v42, v[34:35], v[36:37] offset0:190 offset1:239
	buffer_load_dword v34, off, s[20:23], 0 offset:408 ; 4-byte Folded Reload
	v_sub_f32_e32 v1, v1, v5
	v_sub_f32_e32 v4, v9, v63
	v_add_f32_e32 v5, v62, v8
	v_sub_f32_e32 v2, v7, v61
	v_add_f32_e32 v3, v60, v32
	v_add_f32_e32 v6, v10, v30
	v_sub_f32_e32 v8, v10, v30
	v_add_f32_e32 v10, v11, v18
	;; [unrolled: 3-line block ×3, first 2 shown]
	v_sub_f32_e32 v11, v11, v18
	v_add_f32_e32 v18, v12, v16
	v_sub_f32_e32 v12, v16, v12
	v_add_f32_e32 v16, v10, v6
	;; [unrolled: 2-line block ×4, first 2 shown]
	v_sub_f32_e32 v30, v10, v6
	v_sub_f32_e32 v32, v6, v18
	v_add_f32_e32 v6, v12, v11
	v_add_f32_e32 v16, v18, v16
	v_sub_f32_e32 v31, v13, v7
	v_sub_f32_e32 v33, v7, v19
	v_add_f32_e32 v7, v15, v14
	v_sub_f32_e32 v60, v12, v11
	v_sub_f32_e32 v12, v8, v12
	;; [unrolled: 1-line block ×3, first 2 shown]
	v_add_f32_e32 v17, v19, v17
	v_add_f32_e32 v8, v6, v8
	;; [unrolled: 1-line block ×3, first 2 shown]
	v_sub_f32_e32 v10, v18, v10
	v_sub_f32_e32 v61, v15, v14
	;; [unrolled: 1-line block ×4, first 2 shown]
	v_add_f32_e32 v9, v7, v9
	v_add_f32_e32 v7, v17, v79
	v_mov_b32_e32 v64, v6
	v_sub_f32_e32 v13, v19, v13
	v_mul_f32_e32 v18, 0x3f4a47b2, v32
	v_mul_f32_e32 v19, 0x3f4a47b2, v33
	;; [unrolled: 1-line block ×5, first 2 shown]
	v_fmac_f32_e32 v64, 0xbf955555, v16
	v_mov_b32_e32 v16, v7
	v_mul_f32_e32 v33, 0x3d64c772, v13
	v_mul_f32_e32 v62, 0x3f5ff5aa, v11
	;; [unrolled: 1-line block ×3, first 2 shown]
	v_fmac_f32_e32 v16, 0xbf955555, v17
	v_fma_f32 v17, v30, s3, -v32
	v_fma_f32 v30, v30, s4, -v18
	v_fmac_f32_e32 v18, 0x3d64c772, v10
	v_fma_f32 v10, v31, s4, -v19
	v_fmac_f32_e32 v19, 0x3d64c772, v13
	;; [unrolled: 2-line block ×4, first 2 shown]
	v_fma_f32 v32, v31, s3, -v33
	v_add_f32_e32 v31, v18, v64
	v_add_f32_e32 v33, v19, v16
	v_fmac_f32_e32 v60, 0xbee1c552, v8
	v_fmac_f32_e32 v61, 0xbee1c552, v9
	v_add_f32_e32 v18, v61, v31
	v_sub_f32_e32 v19, v33, v60
	v_fmac_f32_e32 v62, 0x3eae86e6, v12
	v_fmac_f32_e32 v63, 0x3eae86e6, v15
	v_add_f32_e32 v15, v17, v64
	v_add_f32_e32 v32, v32, v16
	v_add_f32_e32 v30, v30, v64
	v_add_f32_e32 v10, v10, v16
	v_fmac_f32_e32 v11, 0xbee1c552, v8
	v_fmac_f32_e32 v14, 0xbee1c552, v9
	;; [unrolled: 1-line block ×4, first 2 shown]
	v_add_f32_e32 v12, v63, v30
	v_sub_f32_e32 v13, v10, v62
	s_waitcnt vmcnt(0)
	ds_write2_b64 v34, v[0:1], v[4:5] offset0:32 offset1:81
	buffer_load_dword v0, off, s[20:23], 0 offset:404 ; 4-byte Folded Reload
	v_sub_f32_e32 v16, v15, v14
	v_add_f32_e32 v17, v11, v32
	v_add_f32_e32 v8, v14, v15
	v_sub_f32_e32 v9, v32, v11
	v_sub_f32_e32 v14, v30, v63
	v_add_f32_e32 v15, v62, v10
	v_sub_f32_e32 v10, v31, v61
	v_add_f32_e32 v11, v60, v33
	v_add_f32_e32 v30, v20, v104
	;; [unrolled: 1-line block ×5, first 2 shown]
	v_sub_f32_e32 v21, v21, v28
	v_add_f32_e32 v28, v22, v26
	v_sub_f32_e32 v22, v26, v22
	v_add_f32_e32 v26, v32, v30
	v_sub_f32_e32 v20, v20, v104
	v_sub_f32_e32 v24, v24, v29
	v_add_f32_e32 v29, v25, v27
	v_sub_f32_e32 v25, v27, v25
	v_add_f32_e32 v27, v33, v31
	v_add_f32_e32 v62, v22, v21
	;; [unrolled: 1-line block ×3, first 2 shown]
	v_sub_f32_e32 v60, v32, v30
	v_sub_f32_e32 v30, v30, v28
	;; [unrolled: 1-line block ×6, first 2 shown]
	v_add_f32_e32 v27, v29, v27
	v_add_f32_e32 v28, v62, v20
	;; [unrolled: 1-line block ×3, first 2 shown]
	v_sub_f32_e32 v23, v23, v105
	v_sub_f32_e32 v61, v33, v31
	;; [unrolled: 1-line block ×4, first 2 shown]
	v_add_f32_e32 v63, v25, v24
	v_sub_f32_e32 v65, v25, v24
	v_add_f32_e32 v21, v27, v69
	v_mov_b32_e32 v69, v20
	v_sub_f32_e32 v25, v23, v25
	v_sub_f32_e32 v24, v24, v23
	v_add_f32_e32 v23, v63, v23
	v_mul_f32_e32 v29, 0x3f4a47b2, v30
	v_mul_f32_e32 v30, 0x3f4a47b2, v31
	;; [unrolled: 1-line block ×6, first 2 shown]
	v_fmac_f32_e32 v69, 0xbf955555, v26
	v_mov_b32_e32 v26, v21
	v_mul_f32_e32 v65, 0x3f5ff5aa, v67
	v_mul_f32_e32 v68, 0x3f5ff5aa, v24
	v_fmac_f32_e32 v26, 0xbf955555, v27
	v_fma_f32 v27, v60, s3, -v31
	v_fma_f32 v31, v61, s3, -v62
	;; [unrolled: 1-line block ×3, first 2 shown]
	v_fmac_f32_e32 v29, 0x3d64c772, v32
	v_fma_f32 v32, v61, s4, -v30
	v_fmac_f32_e32 v30, 0x3d64c772, v33
	v_fma_f32 v61, v67, s2, -v63
	;; [unrolled: 2-line block ×3, first 2 shown]
	v_fmac_f32_e32 v64, 0xbeae86e6, v25
	v_fmac_f32_e32 v65, 0x3eae86e6, v22
	;; [unrolled: 1-line block ×3, first 2 shown]
	v_add_f32_e32 v25, v29, v69
	v_add_f32_e32 v62, v30, v26
	v_fmac_f32_e32 v63, 0xbee1c552, v28
	v_fmac_f32_e32 v64, 0xbee1c552, v23
	v_add_f32_e32 v22, v27, v69
	v_add_f32_e32 v29, v31, v26
	;; [unrolled: 1-line block ×4, first 2 shown]
	v_fmac_f32_e32 v61, 0xbee1c552, v28
	v_fmac_f32_e32 v24, 0xbee1c552, v23
	;; [unrolled: 1-line block ×4, first 2 shown]
	v_add_f32_e32 v32, v64, v25
	s_waitcnt vmcnt(0)
	ds_write_b64 v0, v[2:3] offset:13328
	buffer_load_dword v0, off, s[20:23], 0 offset:412 ; 4-byte Folded Reload
	v_sub_f32_e32 v33, v62, v63
	v_add_f32_e32 v26, v68, v60
	v_sub_f32_e32 v27, v67, v65
	v_sub_f32_e32 v30, v22, v24
	v_add_f32_e32 v31, v61, v29
	v_add_f32_e32 v22, v24, v22
	v_sub_f32_e32 v23, v29, v61
	v_sub_f32_e32 v28, v60, v68
	v_add_f32_e32 v29, v65, v67
	v_sub_f32_e32 v24, v25, v64
	v_add_f32_e32 v25, v63, v62
	s_waitcnt vmcnt(0)
	ds_write2_b64 v0, v[6:7], v[18:19] offset0:179 offset1:228
	buffer_load_dword v0, off, s[20:23], 0 offset:420 ; 4-byte Folded Reload
	s_waitcnt vmcnt(0)
	ds_write2_b64 v0, v[12:13], v[16:17] offset0:21 offset1:70
	ds_write2_b64 v0, v[8:9], v[14:15] offset0:119 offset1:168
	buffer_load_dword v0, off, s[20:23], 0 offset:416 ; 4-byte Folded Reload
	s_waitcnt vmcnt(0)
	ds_write_b64 v0, v[10:11] offset:16072
	buffer_load_dword v0, off, s[20:23], 0 offset:424 ; 4-byte Folded Reload
	s_waitcnt vmcnt(0)
	ds_write2_b64 v0, v[20:21], v[32:33] offset0:10 offset1:59
	ds_write2_b64 v0, v[26:27], v[30:31] offset0:108 offset1:157
	;; [unrolled: 1-line block ×3, first 2 shown]
	buffer_load_dword v0, off, s[20:23], 0 offset:428 ; 4-byte Folded Reload
	s_waitcnt vmcnt(0)
	ds_write_b64 v0, v[24:25] offset:18816
	s_waitcnt lgkmcnt(0)
	; wave barrier
	s_waitcnt lgkmcnt(0)
	ds_read2_b64 v[12:15], v66 offset1:49
	ds_read2_b64 v[0:3], v185 offset0:38 offset1:87
	ds_read2_b64 v[16:19], v112 offset0:174 offset1:223
	;; [unrolled: 1-line block ×23, first 2 shown]
	ds_read_b64 v[99:100], v66 offset:18816
	buffer_load_dword v102, off, s[20:23], 0 offset:464 ; 4-byte Folded Reload
	buffer_load_dword v103, off, s[20:23], 0 offset:468 ; 4-byte Folded Reload
	;; [unrolled: 1-line block ×4, first 2 shown]
	s_waitcnt vmcnt(2) lgkmcnt(14)
	v_mul_f32_e32 v101, v103, v3
	v_fmac_f32_e32 v101, v102, v2
	v_mul_f32_e32 v2, v103, v2
	v_fma_f32 v2, v102, v3, -v2
	s_waitcnt vmcnt(0)
	v_mul_f32_e32 v3, v105, v17
	v_fmac_f32_e32 v3, v104, v16
	v_mul_f32_e32 v16, v105, v16
	v_fma_f32 v16, v104, v17, -v16
	buffer_load_dword v102, off, s[20:23], 0 offset:448 ; 4-byte Folded Reload
	buffer_load_dword v103, off, s[20:23], 0 offset:452 ; 4-byte Folded Reload
	buffer_load_dword v104, off, s[20:23], 0 offset:456 ; 4-byte Folded Reload
	buffer_load_dword v105, off, s[20:23], 0 offset:460 ; 4-byte Folded Reload
	s_waitcnt vmcnt(2)
	v_mul_f32_e32 v17, v103, v23
	v_fmac_f32_e32 v17, v102, v22
	v_mul_f32_e32 v22, v103, v22
	v_fma_f32 v22, v102, v23, -v22
	s_waitcnt vmcnt(0)
	v_mul_f32_e32 v23, v105, v25
	v_fmac_f32_e32 v23, v104, v24
	v_mul_f32_e32 v24, v105, v24
	v_fma_f32 v24, v104, v25, -v24
	buffer_load_dword v102, off, s[20:23], 0 offset:432 ; 4-byte Folded Reload
	buffer_load_dword v103, off, s[20:23], 0 offset:436 ; 4-byte Folded Reload
	buffer_load_dword v104, off, s[20:23], 0 offset:440 ; 4-byte Folded Reload
	buffer_load_dword v105, off, s[20:23], 0 offset:444 ; 4-byte Folded Reload
	s_waitcnt vmcnt(2)
	;; [unrolled: 14-line block ×3, first 2 shown]
	v_mul_f32_e32 v33, v103, v37
	v_fmac_f32_e32 v33, v102, v36
	v_mul_f32_e32 v36, v103, v36
	v_fma_f32 v36, v102, v37, -v36
	s_waitcnt vmcnt(0)
	v_mul_f32_e32 v37, v105, v19
	v_fmac_f32_e32 v37, v104, v18
	v_mul_f32_e32 v18, v105, v18
	v_fma_f32 v102, v104, v19, -v18
	buffer_load_dword v104, off, s[20:23], 0 offset:516 ; 4-byte Folded Reload
	buffer_load_dword v105, off, s[20:23], 0 offset:520 ; 4-byte Folded Reload
	;; [unrolled: 1-line block ×4, first 2 shown]
	v_add_f32_e32 v19, v2, v32
	v_sub_f32_e32 v2, v2, v32
	s_waitcnt vmcnt(2)
	v_mul_f32_e32 v103, v105, v41
	v_mul_f32_e32 v18, v105, v40
	v_fmac_f32_e32 v103, v104, v40
	v_fma_f32 v104, v104, v41, -v18
	s_waitcnt vmcnt(0)
	v_mul_f32_e32 v105, v107, v27
	v_mul_f32_e32 v18, v107, v26
	v_fmac_f32_e32 v105, v106, v26
	v_fma_f32 v26, v106, v27, -v18
	buffer_load_dword v106, off, s[20:23], 0 offset:532 ; 4-byte Folded Reload
	buffer_load_dword v107, off, s[20:23], 0 offset:536 ; 4-byte Folded Reload
	;; [unrolled: 1-line block ×8, first 2 shown]
	s_waitcnt vmcnt(6)
	v_mul_f32_e32 v27, v107, v45
	v_mul_f32_e32 v18, v107, v44
	v_fmac_f32_e32 v27, v106, v44
	v_fma_f32 v106, v106, v45, -v18
	s_waitcnt vmcnt(4)
	v_mul_f32_e32 v107, v109, v35
	v_mul_f32_e32 v18, v109, v34
	v_fmac_f32_e32 v107, v108, v34
	v_fma_f32 v34, v108, v35, -v18
	;; [unrolled: 5-line block ×3, first 2 shown]
	buffer_load_dword v38, off, s[20:23], 0 offset:568 ; 4-byte Folded Reload
	buffer_load_dword v39, off, s[20:23], 0 offset:572 ; 4-byte Folded Reload
	;; [unrolled: 1-line block ×4, first 2 shown]
	s_waitcnt vmcnt(4) lgkmcnt(13)
	v_mul_f32_e32 v18, v123, v48
	v_mul_f32_e32 v110, v123, v49
	v_fma_f32 v111, v122, v49, -v18
	v_fmac_f32_e32 v110, v122, v48
	s_waitcnt vmcnt(2)
	v_mul_f32_e32 v18, v39, v42
	v_mul_f32_e32 v120, v39, v43
	v_fma_f32 v121, v38, v43, -v18
	s_waitcnt vmcnt(0) lgkmcnt(12)
	v_mul_f32_e32 v122, v41, v53
	v_mul_f32_e32 v18, v41, v52
	v_fmac_f32_e32 v120, v38, v42
	v_fmac_f32_e32 v122, v40, v52
	v_fma_f32 v123, v40, v53, -v18
	buffer_load_dword v38, off, s[20:23], 0 offset:584 ; 4-byte Folded Reload
	buffer_load_dword v39, off, s[20:23], 0 offset:588 ; 4-byte Folded Reload
	;; [unrolled: 1-line block ×4, first 2 shown]
	s_waitcnt vmcnt(2)
	v_mul_f32_e32 v18, v39, v46
	v_mul_f32_e32 v124, v39, v47
	v_fma_f32 v125, v38, v47, -v18
	s_waitcnt vmcnt(0) lgkmcnt(11)
	v_mul_f32_e32 v126, v41, v57
	v_mul_f32_e32 v18, v41, v56
	v_fmac_f32_e32 v124, v38, v46
	v_fmac_f32_e32 v126, v40, v56
	v_fma_f32 v127, v40, v57, -v18
	buffer_load_dword v38, off, s[20:23], 0 offset:600 ; 4-byte Folded Reload
	buffer_load_dword v39, off, s[20:23], 0 offset:604 ; 4-byte Folded Reload
	buffer_load_dword v40, off, s[20:23], 0 offset:608 ; 4-byte Folded Reload
	buffer_load_dword v41, off, s[20:23], 0 offset:612 ; 4-byte Folded Reload
	s_waitcnt vmcnt(2) lgkmcnt(10)
	v_mul_f32_e32 v18, v39, v60
	v_mul_f32_e32 v128, v39, v61
	v_fma_f32 v129, v38, v61, -v18
	s_waitcnt vmcnt(0)
	v_mul_f32_e32 v130, v41, v51
	v_mul_f32_e32 v18, v41, v50
	v_fmac_f32_e32 v128, v38, v60
	v_fmac_f32_e32 v130, v40, v50
	v_fma_f32 v131, v40, v51, -v18
	buffer_load_dword v38, off, s[20:23], 0 offset:616 ; 4-byte Folded Reload
	buffer_load_dword v39, off, s[20:23], 0 offset:620 ; 4-byte Folded Reload
	buffer_load_dword v40, off, s[20:23], 0 offset:624 ; 4-byte Folded Reload
	buffer_load_dword v41, off, s[20:23], 0 offset:628 ; 4-byte Folded Reload
	s_waitcnt vmcnt(2) lgkmcnt(9)
	v_mul_f32_e32 v18, v39, v67
	v_mul_f32_e32 v132, v39, v68
	v_fma_f32 v133, v38, v68, -v18
	s_waitcnt vmcnt(0)
	;; [unrolled: 14-line block ×3, first 2 shown]
	v_mul_f32_e32 v138, v41, v59
	v_mul_f32_e32 v18, v41, v58
	v_fmac_f32_e32 v136, v38, v71
	v_fmac_f32_e32 v138, v40, v58
	v_fma_f32 v139, v40, v59, -v18
	buffer_load_dword v38, off, s[20:23], 0 offset:648 ; 4-byte Folded Reload
	buffer_load_dword v39, off, s[20:23], 0 offset:652 ; 4-byte Folded Reload
	;; [unrolled: 1-line block ×4, first 2 shown]
	s_waitcnt vmcnt(2)
	v_mul_f32_e32 v60, v39, v63
	v_mul_f32_e32 v18, v39, v62
	v_fmac_f32_e32 v60, v38, v62
	v_fma_f32 v63, v38, v63, -v18
	s_waitcnt vmcnt(0) lgkmcnt(6)
	v_mul_f32_e32 v62, v41, v76
	v_mul_f32_e32 v18, v41, v75
	v_fmac_f32_e32 v62, v40, v75
	v_fma_f32 v67, v40, v76, -v18
	buffer_load_dword v38, off, s[20:23], 0 offset:664 ; 4-byte Folded Reload
	buffer_load_dword v39, off, s[20:23], 0 offset:668 ; 4-byte Folded Reload
	;; [unrolled: 1-line block ×4, first 2 shown]
	s_waitcnt vmcnt(2)
	v_mul_f32_e32 v64, v39, v70
	v_mul_f32_e32 v18, v39, v69
	v_fmac_f32_e32 v64, v38, v69
	v_fma_f32 v68, v38, v70, -v18
	s_waitcnt vmcnt(0) lgkmcnt(5)
	v_mul_f32_e32 v69, v41, v80
	v_mul_f32_e32 v18, v41, v79
	v_fmac_f32_e32 v69, v40, v79
	v_fma_f32 v140, v40, v80, -v18
	buffer_load_dword v38, off, s[20:23], 0 offset:680 ; 4-byte Folded Reload
	buffer_load_dword v39, off, s[20:23], 0 offset:684 ; 4-byte Folded Reload
	;; [unrolled: 1-line block ×4, first 2 shown]
	v_add_f32_e32 v79, v121, v123
	v_sub_f32_e32 v80, v122, v120
	s_waitcnt vmcnt(2)
	v_mul_f32_e32 v18, v39, v73
	v_mul_f32_e32 v141, v39, v74
	v_fma_f32 v142, v38, v74, -v18
	s_waitcnt vmcnt(0) lgkmcnt(4)
	v_mul_f32_e32 v143, v41, v84
	v_mul_f32_e32 v18, v41, v83
	v_fmac_f32_e32 v141, v38, v73
	v_fmac_f32_e32 v143, v40, v83
	v_fma_f32 v144, v40, v84, -v18
	buffer_load_dword v38, off, s[20:23], 0 offset:752 ; 4-byte Folded Reload
	buffer_load_dword v39, off, s[20:23], 0 offset:756 ; 4-byte Folded Reload
	;; [unrolled: 1-line block ×4, first 2 shown]
	s_waitcnt vmcnt(2) lgkmcnt(3)
	v_mul_f32_e32 v18, v39, v87
	v_mul_f32_e32 v48, v39, v88
	v_fma_f32 v50, v38, v88, -v18
	s_waitcnt vmcnt(0)
	v_mul_f32_e32 v52, v41, v78
	v_mul_f32_e32 v18, v41, v77
	v_fmac_f32_e32 v48, v38, v87
	v_fmac_f32_e32 v52, v40, v77
	v_fma_f32 v54, v40, v78, -v18
	buffer_load_dword v38, off, s[20:23], 0 offset:784 ; 4-byte Folded Reload
	buffer_load_dword v39, off, s[20:23], 0 offset:788 ; 4-byte Folded Reload
	;; [unrolled: 1-line block ×4, first 2 shown]
	s_waitcnt vmcnt(2) lgkmcnt(2)
	v_mul_f32_e32 v18, v39, v91
	v_mul_f32_e32 v53, v39, v92
	v_fma_f32 v55, v38, v92, -v18
	s_waitcnt vmcnt(0)
	v_mul_f32_e32 v56, v41, v82
	v_mul_f32_e32 v18, v41, v81
	v_fmac_f32_e32 v53, v38, v91
	v_fmac_f32_e32 v56, v40, v81
	v_fma_f32 v57, v40, v82, -v18
	buffer_load_dword v38, off, s[20:23], 0 offset:848 ; 4-byte Folded Reload
	buffer_load_dword v39, off, s[20:23], 0 offset:852 ; 4-byte Folded Reload
	;; [unrolled: 1-line block ×12, first 2 shown]
	v_sub_f32_e32 v81, v123, v121
	v_add_f32_e32 v91, v133, v135
	v_sub_f32_e32 v92, v134, v132
	s_waitcnt vmcnt(10) lgkmcnt(1)
	v_mul_f32_e32 v18, v39, v95
	v_fma_f32 v59, v38, v96, -v18
	s_waitcnt vmcnt(8)
	v_mul_f32_e32 v18, v41, v85
	v_fma_f32 v65, v40, v86, -v18
	v_mul_f32_e32 v18, v117, v89
	v_mul_f32_e32 v61, v41, v86
	v_fma_f32 v41, v116, v90, -v18
	v_mul_f32_e32 v18, v119, v20
	v_fmac_f32_e32 v61, v40, v85
	v_fma_f32 v42, v118, v21, -v18
	s_waitcnt vmcnt(6)
	v_mul_f32_e32 v40, v44, v94
	v_mul_f32_e32 v18, v44, v93
	v_fmac_f32_e32 v40, v43, v93
	v_fma_f32 v43, v43, v94, -v18
	s_waitcnt vmcnt(4)
	v_mul_f32_e32 v44, v46, v29
	;; [unrolled: 5-line block ×3, first 2 shown]
	v_fma_f32 v47, v70, v98, -v18
	s_waitcnt vmcnt(0) lgkmcnt(0)
	v_mul_f32_e32 v18, v73, v99
	v_mul_f32_e32 v58, v39, v96
	;; [unrolled: 1-line block ×3, first 2 shown]
	v_fma_f32 v51, v72, v100, -v18
	v_add_f32_e32 v18, v101, v31
	v_add_f32_e32 v21, v3, v25
	;; [unrolled: 1-line block ×3, first 2 shown]
	v_sub_f32_e32 v3, v3, v25
	v_sub_f32_e32 v16, v16, v30
	v_add_f32_e32 v25, v17, v23
	v_add_f32_e32 v29, v22, v24
	v_sub_f32_e32 v17, v23, v17
	v_sub_f32_e32 v22, v24, v22
	v_add_f32_e32 v23, v21, v18
	v_add_f32_e32 v24, v28, v19
	;; [unrolled: 1-line block ×4, first 2 shown]
	v_fmac_f32_e32 v39, v118, v20
	v_mul_f32_e32 v46, v71, v98
	v_mul_f32_e32 v49, v73, v100
	v_sub_f32_e32 v20, v101, v31
	v_sub_f32_e32 v30, v21, v18
	;; [unrolled: 1-line block ×4, first 2 shown]
	v_add_f32_e32 v32, v17, v3
	v_sub_f32_e32 v71, v22, v16
	v_sub_f32_e32 v22, v2, v22
	;; [unrolled: 1-line block ×3, first 2 shown]
	v_add_f32_e32 v24, v29, v24
	v_add_f32_e32 v25, v35, v2
	;; [unrolled: 1-line block ×3, first 2 shown]
	v_fmac_f32_e32 v46, v70, v97
	v_fmac_f32_e32 v49, v72, v99
	v_sub_f32_e32 v31, v28, v19
	v_sub_f32_e32 v19, v19, v29
	;; [unrolled: 1-line block ×6, first 2 shown]
	v_add_f32_e32 v20, v32, v20
	v_add_f32_e32 v3, v24, v13
	v_mul_f32_e32 v32, 0x3f08b237, v71
	v_mov_b32_e32 v71, v2
	v_mul_f32_e32 v12, 0x3f4a47b2, v18
	v_mul_f32_e32 v13, 0x3f4a47b2, v19
	;; [unrolled: 1-line block ×4, first 2 shown]
	v_fmac_f32_e32 v71, 0xbf955555, v23
	v_mov_b32_e32 v23, v3
	v_mul_f32_e32 v18, 0x3d64c772, v21
	v_mul_f32_e32 v35, 0x3f5ff5aa, v72
	;; [unrolled: 1-line block ×3, first 2 shown]
	v_fmac_f32_e32 v23, 0xbf955555, v24
	v_fma_f32 v19, v31, s3, -v19
	v_fma_f32 v24, v30, s4, -v12
	v_fmac_f32_e32 v12, 0x3d64c772, v21
	v_fma_f32 v21, v31, s4, -v13
	v_fmac_f32_e32 v13, 0x3d64c772, v28
	v_fma_f32 v28, v72, s2, -v29
	v_fma_f32 v16, v16, s2, -v32
	v_fmac_f32_e32 v32, 0xbeae86e6, v22
	v_fma_f32 v18, v30, s3, -v18
	v_fmac_f32_e32 v29, 0xbeae86e6, v17
	v_fmac_f32_e32 v35, 0x3eae86e6, v17
	;; [unrolled: 1-line block ×3, first 2 shown]
	v_add_f32_e32 v12, v12, v71
	v_add_f32_e32 v19, v19, v23
	v_fmac_f32_e32 v32, 0xbee1c552, v25
	v_fmac_f32_e32 v28, 0xbee1c552, v20
	v_add_f32_e32 v13, v13, v23
	v_add_f32_e32 v17, v18, v71
	;; [unrolled: 1-line block ×4, first 2 shown]
	v_fmac_f32_e32 v29, 0xbee1c552, v20
	v_fmac_f32_e32 v16, 0xbee1c552, v25
	;; [unrolled: 1-line block ×4, first 2 shown]
	v_add_f32_e32 v24, v32, v12
	v_add_f32_e32 v21, v28, v19
	v_sub_f32_e32 v19, v19, v28
	v_sub_f32_e32 v12, v12, v32
	v_add_f32_e32 v28, v33, v107
	v_add_f32_e32 v32, v37, v27
	v_sub_f32_e32 v25, v13, v29
	v_add_f32_e32 v22, v70, v30
	v_sub_f32_e32 v23, v31, v35
	v_sub_f32_e32 v20, v17, v16
	v_add_f32_e32 v18, v16, v17
	v_sub_f32_e32 v16, v30, v70
	v_add_f32_e32 v17, v35, v31
	v_add_f32_e32 v13, v29, v13
	v_add_f32_e32 v29, v36, v34
	v_sub_f32_e32 v30, v33, v107
	v_add_f32_e32 v33, v102, v106
	v_add_f32_e32 v35, v103, v105
	v_add_f32_e32 v70, v32, v28
	v_sub_f32_e32 v31, v36, v34
	v_add_f32_e32 v36, v104, v26
	v_add_f32_e32 v71, v33, v29
	v_sub_f32_e32 v72, v32, v28
	v_sub_f32_e32 v28, v28, v35
	;; [unrolled: 1-line block ×3, first 2 shown]
	v_add_f32_e32 v35, v35, v70
	v_sub_f32_e32 v27, v37, v27
	v_sub_f32_e32 v34, v102, v106
	;; [unrolled: 1-line block ×7, first 2 shown]
	v_add_f32_e32 v36, v36, v71
	v_add_f32_e32 v14, v35, v14
	;; [unrolled: 1-line block ×4, first 2 shown]
	v_sub_f32_e32 v76, v37, v27
	v_sub_f32_e32 v77, v26, v34
	;; [unrolled: 1-line block ×3, first 2 shown]
	v_add_f32_e32 v15, v36, v15
	v_mov_b32_e32 v78, v14
	v_sub_f32_e32 v37, v30, v37
	v_sub_f32_e32 v26, v31, v26
	;; [unrolled: 1-line block ×3, first 2 shown]
	v_add_f32_e32 v30, v74, v30
	v_add_f32_e32 v31, v75, v31
	v_mul_f32_e32 v28, 0x3f4a47b2, v28
	v_mul_f32_e32 v29, 0x3f4a47b2, v29
	;; [unrolled: 1-line block ×7, first 2 shown]
	v_fmac_f32_e32 v78, 0xbf955555, v35
	v_mov_b32_e32 v35, v15
	v_mul_f32_e32 v76, 0x3f5ff5aa, v27
	v_fmac_f32_e32 v35, 0xbf955555, v36
	v_fma_f32 v36, v72, s3, -v70
	v_fma_f32 v70, v73, s3, -v71
	;; [unrolled: 1-line block ×3, first 2 shown]
	v_fmac_f32_e32 v28, 0x3d64c772, v32
	v_fma_f32 v32, v73, s4, -v29
	v_fmac_f32_e32 v29, 0x3d64c772, v33
	v_fma_f32 v27, v27, s2, -v74
	;; [unrolled: 2-line block ×3, first 2 shown]
	v_fmac_f32_e32 v77, 0x3eae86e6, v26
	v_fmac_f32_e32 v75, 0xbeae86e6, v26
	;; [unrolled: 1-line block ×3, first 2 shown]
	v_add_f32_e32 v26, v28, v78
	v_add_f32_e32 v73, v29, v35
	v_add_f32_e32 v28, v36, v78
	v_add_f32_e32 v29, v70, v35
	v_add_f32_e32 v70, v71, v78
	v_fmac_f32_e32 v74, 0xbee1c552, v30
	v_fmac_f32_e32 v27, 0xbee1c552, v30
	;; [unrolled: 1-line block ×4, first 2 shown]
	v_add_f32_e32 v71, v32, v35
	v_fmac_f32_e32 v75, 0xbee1c552, v31
	v_fmac_f32_e32 v76, 0xbee1c552, v30
	v_sub_f32_e32 v37, v73, v74
	v_add_f32_e32 v34, v77, v70
	v_sub_f32_e32 v32, v28, v72
	v_add_f32_e32 v33, v27, v29
	v_add_f32_e32 v30, v72, v28
	v_sub_f32_e32 v31, v29, v27
	v_sub_f32_e32 v28, v70, v77
	v_add_f32_e32 v27, v74, v73
	v_add_f32_e32 v70, v108, v126
	;; [unrolled: 1-line block ×4, first 2 shown]
	v_sub_f32_e32 v35, v71, v76
	v_add_f32_e32 v29, v76, v71
	v_sub_f32_e32 v26, v26, v75
	v_add_f32_e32 v71, v109, v127
	v_add_f32_e32 v75, v111, v125
	;; [unrolled: 1-line block ×5, first 2 shown]
	v_sub_f32_e32 v84, v74, v70
	v_sub_f32_e32 v70, v70, v78
	;; [unrolled: 1-line block ×3, first 2 shown]
	v_add_f32_e32 v78, v78, v82
	v_fmac_f32_e32 v58, v38, v95
	v_mul_f32_e32 v38, v117, v90
	v_sub_f32_e32 v73, v109, v127
	v_sub_f32_e32 v76, v110, v124
	;; [unrolled: 1-line block ×6, first 2 shown]
	v_add_f32_e32 v79, v79, v83
	v_add_f32_e32 v8, v78, v8
	v_fmac_f32_e32 v38, v116, v89
	v_sub_f32_e32 v72, v108, v126
	v_add_f32_e32 v86, v80, v76
	v_add_f32_e32 v87, v81, v77
	v_sub_f32_e32 v88, v80, v76
	v_sub_f32_e32 v89, v81, v77
	;; [unrolled: 1-line block ×3, first 2 shown]
	v_add_f32_e32 v9, v79, v9
	v_mov_b32_e32 v90, v8
	v_sub_f32_e32 v80, v72, v80
	v_sub_f32_e32 v81, v73, v81
	;; [unrolled: 1-line block ×3, first 2 shown]
	v_add_f32_e32 v72, v86, v72
	v_add_f32_e32 v73, v87, v73
	v_mul_f32_e32 v70, 0x3f4a47b2, v70
	v_mul_f32_e32 v71, 0x3f4a47b2, v71
	;; [unrolled: 1-line block ×7, first 2 shown]
	v_fmac_f32_e32 v90, 0xbf955555, v78
	v_mov_b32_e32 v78, v9
	v_mul_f32_e32 v88, 0x3f5ff5aa, v76
	v_fmac_f32_e32 v78, 0xbf955555, v79
	v_fma_f32 v79, v84, s3, -v82
	v_fma_f32 v82, v85, s3, -v83
	;; [unrolled: 1-line block ×3, first 2 shown]
	v_fmac_f32_e32 v70, 0x3d64c772, v74
	v_fma_f32 v74, v85, s4, -v71
	v_fmac_f32_e32 v71, 0x3d64c772, v75
	v_fma_f32 v84, v76, s2, -v86
	v_fmac_f32_e32 v86, 0xbeae86e6, v80
	v_fmac_f32_e32 v89, 0x3eae86e6, v81
	v_fma_f32 v76, v77, s2, -v87
	v_fmac_f32_e32 v87, 0xbeae86e6, v81
	v_fmac_f32_e32 v88, 0x3eae86e6, v80
	v_add_f32_e32 v81, v71, v78
	v_add_f32_e32 v77, v79, v90
	;; [unrolled: 1-line block ×4, first 2 shown]
	v_fmac_f32_e32 v86, 0xbee1c552, v72
	v_fmac_f32_e32 v89, 0xbee1c552, v73
	v_add_f32_e32 v80, v70, v90
	v_add_f32_e32 v83, v74, v78
	v_fmac_f32_e32 v87, 0xbee1c552, v73
	v_fmac_f32_e32 v84, 0xbee1c552, v72
	;; [unrolled: 1-line block ×4, first 2 shown]
	v_sub_f32_e32 v71, v81, v86
	v_add_f32_e32 v72, v89, v82
	v_sub_f32_e32 v78, v82, v89
	v_add_f32_e32 v81, v86, v81
	v_add_f32_e32 v82, v128, v138
	;; [unrolled: 1-line block ×4, first 2 shown]
	v_sub_f32_e32 v73, v83, v88
	v_sub_f32_e32 v74, v77, v76
	v_add_f32_e32 v75, v84, v79
	v_add_f32_e32 v76, v76, v77
	v_sub_f32_e32 v77, v79, v84
	v_add_f32_e32 v79, v88, v83
	v_sub_f32_e32 v80, v80, v87
	v_add_f32_e32 v83, v129, v139
	v_add_f32_e32 v87, v131, v137
	;; [unrolled: 1-line block ×5, first 2 shown]
	v_sub_f32_e32 v96, v86, v82
	v_sub_f32_e32 v82, v82, v90
	;; [unrolled: 1-line block ×3, first 2 shown]
	v_add_f32_e32 v90, v90, v94
	v_sub_f32_e32 v85, v129, v139
	v_sub_f32_e32 v88, v130, v136
	;; [unrolled: 1-line block ×7, first 2 shown]
	v_add_f32_e32 v91, v91, v95
	v_add_f32_e32 v10, v90, v10
	v_sub_f32_e32 v84, v128, v138
	v_add_f32_e32 v98, v92, v88
	v_add_f32_e32 v99, v93, v89
	v_sub_f32_e32 v100, v92, v88
	v_sub_f32_e32 v101, v93, v89
	;; [unrolled: 1-line block ×3, first 2 shown]
	v_add_f32_e32 v11, v91, v11
	v_mov_b32_e32 v102, v10
	v_sub_f32_e32 v92, v84, v92
	v_sub_f32_e32 v93, v85, v93
	;; [unrolled: 1-line block ×3, first 2 shown]
	v_add_f32_e32 v84, v98, v84
	v_add_f32_e32 v85, v99, v85
	v_mul_f32_e32 v82, 0x3f4a47b2, v82
	v_mul_f32_e32 v94, 0x3d64c772, v86
	;; [unrolled: 1-line block ×6, first 2 shown]
	v_fmac_f32_e32 v102, 0xbf955555, v90
	v_mov_b32_e32 v90, v11
	v_mul_f32_e32 v83, 0x3f4a47b2, v83
	v_mul_f32_e32 v100, 0x3f5ff5aa, v88
	v_fmac_f32_e32 v90, 0xbf955555, v91
	v_fma_f32 v91, v96, s3, -v94
	v_fma_f32 v94, v97, s3, -v95
	;; [unrolled: 1-line block ×5, first 2 shown]
	v_fmac_f32_e32 v101, 0x3eae86e6, v93
	v_fmac_f32_e32 v82, 0x3d64c772, v86
	v_fma_f32 v86, v97, s4, -v83
	v_fmac_f32_e32 v83, 0x3d64c772, v87
	v_fmac_f32_e32 v98, 0xbeae86e6, v92
	;; [unrolled: 1-line block ×3, first 2 shown]
	v_add_f32_e32 v89, v91, v102
	v_add_f32_e32 v91, v94, v90
	;; [unrolled: 1-line block ×3, first 2 shown]
	v_fmac_f32_e32 v96, 0xbee1c552, v84
	v_fmac_f32_e32 v88, 0xbee1c552, v85
	;; [unrolled: 1-line block ×4, first 2 shown]
	v_add_f32_e32 v93, v83, v90
	v_add_f32_e32 v95, v86, v90
	v_fmac_f32_e32 v98, 0xbee1c552, v84
	v_fmac_f32_e32 v100, 0xbee1c552, v84
	v_add_f32_e32 v84, v101, v94
	v_sub_f32_e32 v86, v89, v88
	v_add_f32_e32 v87, v96, v91
	v_add_f32_e32 v88, v88, v89
	v_sub_f32_e32 v89, v91, v96
	v_sub_f32_e32 v90, v94, v101
	v_add_f32_e32 v94, v60, v143
	v_add_f32_e32 v96, v62, v141
	;; [unrolled: 1-line block ×3, first 2 shown]
	v_fmac_f32_e32 v99, 0xbee1c552, v85
	v_sub_f32_e32 v83, v93, v98
	v_sub_f32_e32 v85, v95, v100
	v_add_f32_e32 v91, v100, v95
	v_add_f32_e32 v93, v98, v93
	;; [unrolled: 1-line block ×5, first 2 shown]
	v_sub_f32_e32 v64, v69, v64
	v_add_f32_e32 v69, v96, v94
	v_add_f32_e32 v82, v99, v92
	v_sub_f32_e32 v92, v92, v99
	v_add_f32_e32 v99, v68, v140
	v_add_f32_e32 v100, v97, v95
	;; [unrolled: 1-line block ×3, first 2 shown]
	v_sub_f32_e32 v60, v60, v143
	v_sub_f32_e32 v63, v63, v144
	;; [unrolled: 1-line block ×8, first 2 shown]
	v_add_f32_e32 v98, v99, v100
	v_add_f32_e32 v4, v69, v4
	v_sub_f32_e32 v102, v97, v95
	v_sub_f32_e32 v95, v95, v99
	;; [unrolled: 1-line block ×3, first 2 shown]
	v_add_f32_e32 v103, v64, v62
	v_add_f32_e32 v104, v68, v67
	v_sub_f32_e32 v105, v64, v62
	v_sub_f32_e32 v106, v68, v67
	;; [unrolled: 1-line block ×4, first 2 shown]
	v_add_f32_e32 v5, v98, v5
	v_mov_b32_e32 v107, v4
	v_sub_f32_e32 v64, v60, v64
	v_sub_f32_e32 v68, v63, v68
	v_add_f32_e32 v60, v103, v60
	v_add_f32_e32 v63, v104, v63
	v_mul_f32_e32 v94, 0x3f4a47b2, v94
	v_mul_f32_e32 v95, 0x3f4a47b2, v95
	;; [unrolled: 1-line block ×8, first 2 shown]
	v_fmac_f32_e32 v107, 0xbf955555, v69
	v_mov_b32_e32 v69, v5
	v_fmac_f32_e32 v69, 0xbf955555, v98
	v_fma_f32 v98, v101, s3, -v99
	v_fma_f32 v99, v102, s3, -v100
	;; [unrolled: 1-line block ×3, first 2 shown]
	v_fmac_f32_e32 v94, 0x3d64c772, v96
	v_fma_f32 v96, v102, s4, -v95
	v_fmac_f32_e32 v95, 0x3d64c772, v97
	v_fma_f32 v97, v62, s2, -v103
	;; [unrolled: 2-line block ×3, first 2 shown]
	v_fmac_f32_e32 v104, 0xbeae86e6, v68
	v_fmac_f32_e32 v105, 0x3eae86e6, v64
	;; [unrolled: 1-line block ×3, first 2 shown]
	v_add_f32_e32 v64, v94, v107
	v_add_f32_e32 v98, v98, v107
	;; [unrolled: 1-line block ×3, first 2 shown]
	v_fmac_f32_e32 v103, 0xbee1c552, v60
	v_fmac_f32_e32 v104, 0xbee1c552, v63
	;; [unrolled: 1-line block ×6, first 2 shown]
	v_add_f32_e32 v60, v48, v61
	v_sub_f32_e32 v48, v48, v61
	v_add_f32_e32 v61, v52, v58
	v_add_f32_e32 v102, v95, v69
	;; [unrolled: 1-line block ×6, first 2 shown]
	v_sub_f32_e32 v94, v98, v101
	v_add_f32_e32 v96, v101, v98
	v_sub_f32_e32 v98, v100, v106
	v_sub_f32_e32 v100, v64, v104
	v_add_f32_e32 v64, v50, v65
	v_sub_f32_e32 v50, v50, v65
	v_add_f32_e32 v65, v54, v59
	;; [unrolled: 2-line block ×6, first 2 shown]
	v_add_f32_e32 v56, v58, v56
	v_add_f32_e32 v57, v59, v57
	;; [unrolled: 1-line block ×3, first 2 shown]
	v_sub_f32_e32 v63, v102, v103
	v_sub_f32_e32 v68, v69, v105
	v_add_f32_e32 v95, v97, v99
	v_sub_f32_e32 v97, v99, v97
	v_add_f32_e32 v99, v105, v69
	v_add_f32_e32 v101, v103, v102
	v_sub_f32_e32 v69, v61, v60
	v_sub_f32_e32 v102, v65, v64
	;; [unrolled: 1-line block ×6, first 2 shown]
	v_add_f32_e32 v103, v53, v52
	v_sub_f32_e32 v105, v53, v52
	v_sub_f32_e32 v52, v52, v48
	v_add_f32_e32 v7, v57, v7
	v_mov_b32_e32 v107, v6
	v_add_f32_e32 v104, v55, v54
	v_sub_f32_e32 v106, v55, v54
	v_sub_f32_e32 v53, v48, v53
	;; [unrolled: 1-line block ×3, first 2 shown]
	v_add_f32_e32 v48, v103, v48
	v_mul_f32_e32 v58, 0x3f4a47b2, v60
	v_mul_f32_e32 v59, 0x3f4a47b2, v64
	;; [unrolled: 1-line block ×6, first 2 shown]
	v_fmac_f32_e32 v107, 0xbf955555, v56
	v_mov_b32_e32 v56, v7
	v_sub_f32_e32 v55, v50, v55
	v_add_f32_e32 v50, v104, v50
	v_mul_f32_e32 v104, 0x3f08b237, v106
	v_mul_f32_e32 v106, 0x3f5ff5aa, v54
	v_fmac_f32_e32 v56, 0xbf955555, v57
	v_fma_f32 v57, v69, s3, -v60
	v_fma_f32 v60, v102, s3, -v64
	;; [unrolled: 1-line block ×3, first 2 shown]
	v_fmac_f32_e32 v58, 0x3d64c772, v61
	v_fma_f32 v61, v102, s4, -v59
	v_fmac_f32_e32 v59, 0x3d64c772, v65
	v_fma_f32 v65, v52, s2, -v103
	v_fmac_f32_e32 v103, 0xbeae86e6, v53
	v_fmac_f32_e32 v105, 0x3eae86e6, v53
	v_fma_f32 v69, v54, s2, -v104
	v_fmac_f32_e32 v104, 0xbeae86e6, v55
	v_fmac_f32_e32 v106, 0x3eae86e6, v55
	v_fmac_f32_e32 v103, 0xbee1c552, v48
	v_fmac_f32_e32 v65, 0xbee1c552, v48
	v_fmac_f32_e32 v105, 0xbee1c552, v48
	v_add_f32_e32 v48, v38, v49
	v_sub_f32_e32 v38, v38, v49
	v_add_f32_e32 v49, v39, v46
	v_fmac_f32_e32 v104, 0xbee1c552, v50
	v_fmac_f32_e32 v69, 0xbee1c552, v50
	;; [unrolled: 1-line block ×3, first 2 shown]
	v_add_f32_e32 v50, v41, v51
	v_sub_f32_e32 v41, v41, v51
	v_add_f32_e32 v51, v42, v47
	v_sub_f32_e32 v39, v39, v46
	;; [unrolled: 2-line block ×5, first 2 shown]
	v_add_f32_e32 v45, v51, v50
	v_add_f32_e32 v44, v46, v44
	;; [unrolled: 1-line block ×11, first 2 shown]
	v_sub_f32_e32 v53, v108, v103
	v_add_f32_e32 v54, v106, v60
	v_sub_f32_e32 v55, v61, v105
	v_sub_f32_e32 v56, v58, v69
	v_add_f32_e32 v57, v65, v59
	v_add_f32_e32 v58, v69, v58
	v_sub_f32_e32 v59, v59, v65
	v_sub_f32_e32 v60, v60, v106
	v_add_f32_e32 v61, v105, v61
	v_sub_f32_e32 v64, v102, v104
	v_add_f32_e32 v65, v103, v108
	v_sub_f32_e32 v69, v49, v48
	v_sub_f32_e32 v102, v51, v50
	;; [unrolled: 1-line block ×6, first 2 shown]
	v_add_f32_e32 v103, v40, v39
	v_add_f32_e32 v104, v43, v42
	v_sub_f32_e32 v105, v40, v39
	v_sub_f32_e32 v106, v43, v42
	;; [unrolled: 1-line block ×4, first 2 shown]
	v_add_f32_e32 v1, v45, v1
	v_mov_b32_e32 v107, v0
	v_sub_f32_e32 v40, v38, v40
	v_sub_f32_e32 v43, v41, v43
	v_add_f32_e32 v38, v103, v38
	v_add_f32_e32 v41, v104, v41
	v_mul_f32_e32 v46, 0x3f4a47b2, v48
	v_mul_f32_e32 v47, 0x3f4a47b2, v50
	v_mul_f32_e32 v48, 0x3d64c772, v49
	v_mul_f32_e32 v50, 0x3d64c772, v51
	v_mul_f32_e32 v103, 0x3f08b237, v105
	v_mul_f32_e32 v104, 0x3f08b237, v106
	v_mul_f32_e32 v105, 0x3f5ff5aa, v39
	v_mul_f32_e32 v106, 0x3f5ff5aa, v42
	v_fmac_f32_e32 v107, 0xbf955555, v44
	v_mov_b32_e32 v44, v1
	v_fmac_f32_e32 v44, 0xbf955555, v45
	v_fma_f32 v45, v69, s3, -v48
	v_fma_f32 v48, v102, s3, -v50
	;; [unrolled: 1-line block ×3, first 2 shown]
	v_fmac_f32_e32 v46, 0x3d64c772, v49
	v_fma_f32 v49, v102, s4, -v47
	v_fmac_f32_e32 v47, 0x3d64c772, v51
	v_fma_f32 v51, v39, s2, -v103
	;; [unrolled: 2-line block ×3, first 2 shown]
	v_fmac_f32_e32 v104, 0xbeae86e6, v43
	v_fmac_f32_e32 v105, 0x3eae86e6, v40
	;; [unrolled: 1-line block ×3, first 2 shown]
	ds_write_b64 v66, v[24:25] offset:2744
	ds_write_b64 v66, v[22:23] offset:5488
	;; [unrolled: 1-line block ×6, first 2 shown]
	ds_write2_b64 v66, v[2:3], v[14:15] offset1:49
	ds_write2_b64 v185, v[36:37], v[70:71] offset0:136 offset1:185
	v_add_u32_e32 v2, 0x1400, v66
	v_add_f32_e32 v102, v46, v107
	v_add_f32_e32 v108, v47, v44
	;; [unrolled: 1-line block ×6, first 2 shown]
	v_fmac_f32_e32 v103, 0xbee1c552, v38
	v_fmac_f32_e32 v104, 0xbee1c552, v41
	;; [unrolled: 1-line block ×6, first 2 shown]
	ds_write2_b64 v2, v[34:35], v[72:73] offset0:95 offset1:144
	ds_write2_b64 v114, v[32:33], v[74:75] offset0:54 offset1:103
	;; [unrolled: 1-line block ×9, first 2 shown]
	v_add_u32_e32 v2, 0x2c00, v66
	v_add_f32_e32 v38, v104, v102
	v_sub_f32_e32 v39, v108, v103
	v_add_f32_e32 v40, v106, v47
	v_sub_f32_e32 v41, v48, v105
	v_sub_f32_e32 v42, v45, v69
	v_add_f32_e32 v43, v51, v46
	v_add_f32_e32 v44, v69, v45
	v_sub_f32_e32 v45, v46, v51
	v_sub_f32_e32 v46, v47, v106
	v_add_f32_e32 v47, v105, v48
	v_sub_f32_e32 v48, v102, v104
	v_add_f32_e32 v49, v103, v108
	ds_write2_b64 v2, v[88:89], v[96:97] offset0:111 offset1:160
	ds_write2_b64 v115, v[90:91], v[98:99] offset0:70 offset1:119
	;; [unrolled: 1-line block ×4, first 2 shown]
	ds_write_b64 v66, v[0:1] offset:2352
	ds_write2_b64 v112, v[52:53], v[38:39] offset0:76 offset1:125
	ds_write2_b64 v113, v[54:55], v[40:41] offset0:163 offset1:212
	ds_write2_b64 v193, v[56:57], v[42:43] offset0:122 offset1:171
	ds_write2_b64 v186, v[58:59], v[44:45] offset0:81 offset1:130
	ds_write2_b64 v115, v[60:61], v[46:47] offset0:168 offset1:217
	v_add_u32_e32 v0, 0x4400, v66
	ds_write2_b64 v0, v[64:65], v[48:49] offset0:127 offset1:176
	s_waitcnt lgkmcnt(0)
	; wave barrier
	s_waitcnt lgkmcnt(0)
	ds_read2_b64 v[6:9], v66 offset1:49
	buffer_load_dword v1, off, s[20:23], 0 offset:392 ; 4-byte Folded Reload
	buffer_load_dword v2, off, s[20:23], 0 offset:396 ; 4-byte Folded Reload
	buffer_load_dword v4, off, s[20:23], 0 offset:400 ; 4-byte Folded Reload
	s_mov_b32 s2, 0x5cf97efd
	s_mov_b32 s3, 0x3f3b4b98
	s_waitcnt vmcnt(1) lgkmcnt(0)
	v_mul_f32_e32 v0, v2, v7
	v_fmac_f32_e32 v0, v1, v6
	v_mov_b32_e32 v3, v2
	v_mov_b32_e32 v2, v1
	v_cvt_f64_f32_e32 v[0:1], v0
	v_mul_f64 v[0:1], v[0:1], s[2:3]
	v_cvt_f32_f64_e32 v0, v[0:1]
	v_mul_f32_e32 v1, v3, v6
	v_fma_f32 v1, v2, v7, -v1
	v_cvt_f64_f32_e32 v[1:2], v1
	v_mov_b32_e32 v6, s13
	v_mul_f64 v[1:2], v[1:2], s[2:3]
	v_cvt_f32_f64_e32 v1, v[1:2]
	s_waitcnt vmcnt(0)
	v_mad_u64_u32 v[2:3], s[4:5], s0, v4, 0
	v_mad_u64_u32 v[3:4], s[4:5], s1, v4, v[3:4]
	buffer_load_dword v4, off, s[20:23], 0 offset:344 ; 4-byte Folded Reload
	buffer_load_dword v5, off, s[20:23], 0 offset:348 ; 4-byte Folded Reload
	s_mul_i32 s4, s1, 0xab8
	v_lshlrev_b64 v[2:3], 3, v[2:3]
	s_mul_hi_u32 s5, s0, 0xab8
	s_add_i32 s4, s5, s4
	s_mul_i32 s5, s0, 0xab8
	s_mulk_i32 s1, 0xc138
	s_add_i32 s1, s6, s1
	s_mulk_i32 s0, 0xc138
	s_waitcnt vmcnt(0)
	v_lshlrev_b64 v[4:5], 3, v[4:5]
	v_add_co_u32_e32 v4, vcc, s12, v4
	v_addc_co_u32_e32 v5, vcc, v6, v5, vcc
	v_add_co_u32_e32 v4, vcc, v4, v2
	v_addc_co_u32_e32 v5, vcc, v5, v3, vcc
	global_store_dwordx2 v[4:5], v[0:1], off
	ds_read2_b64 v[0:3], v185 offset0:38 offset1:87
	buffer_load_dword v10, off, s[20:23], 0 offset:376 ; 4-byte Folded Reload
	buffer_load_dword v11, off, s[20:23], 0 offset:380 ; 4-byte Folded Reload
	s_waitcnt vmcnt(0) lgkmcnt(0)
	v_mul_f32_e32 v6, v11, v3
	v_fmac_f32_e32 v6, v10, v2
	v_mul_f32_e32 v2, v11, v2
	v_fma_f32 v2, v10, v3, -v2
	v_cvt_f64_f32_e32 v[6:7], v6
	v_cvt_f64_f32_e32 v[2:3], v2
	ds_read2_b64 v[10:13], v112 offset0:174 offset1:223
	v_mul_f64 v[6:7], v[6:7], s[2:3]
	v_mul_f64 v[2:3], v[2:3], s[2:3]
	v_cvt_f32_f64_e32 v6, v[6:7]
	v_cvt_f32_f64_e32 v7, v[2:3]
	v_add_co_u32_e32 v2, vcc, s5, v4
	v_mov_b32_e32 v3, s4
	v_addc_co_u32_e32 v3, vcc, v5, v3, vcc
	global_store_dwordx2 v[2:3], v[6:7], off
	buffer_load_dword v5, off, s[20:23], 0 offset:360 ; 4-byte Folded Reload
	s_nop 0
	buffer_load_dword v6, off, s[20:23], 0 offset:364 ; 4-byte Folded Reload
	s_waitcnt vmcnt(0) lgkmcnt(0)
	v_mul_f32_e32 v4, v6, v11
	v_fmac_f32_e32 v4, v5, v10
	v_mov_b32_e32 v7, v6
	v_mov_b32_e32 v6, v5
	v_cvt_f64_f32_e32 v[4:5], v4
	v_mul_f64 v[4:5], v[4:5], s[2:3]
	v_cvt_f32_f64_e32 v4, v[4:5]
	v_mul_f32_e32 v5, v7, v10
	v_fma_f32 v5, v6, v11, -v5
	v_cvt_f64_f32_e32 v[5:6], v5
	v_mul_f64 v[5:6], v[5:6], s[2:3]
	v_cvt_f32_f64_e32 v5, v[5:6]
	v_add_co_u32_e32 v6, vcc, s5, v2
	v_mov_b32_e32 v2, s4
	v_addc_co_u32_e32 v7, vcc, v3, v2, vcc
	global_store_dwordx2 v[6:7], v[4:5], off
	ds_read2_b64 v[2:5], v195 offset0:84 offset1:133
	buffer_load_dword v14, off, s[20:23], 0 offset:352 ; 4-byte Folded Reload
	buffer_load_dword v15, off, s[20:23], 0 offset:356 ; 4-byte Folded Reload
	s_waitcnt vmcnt(0) lgkmcnt(0)
	v_mul_f32_e32 v10, v15, v5
	v_fmac_f32_e32 v10, v14, v4
	v_mul_f32_e32 v4, v15, v4
	v_fma_f32 v4, v14, v5, -v4
	v_cvt_f64_f32_e32 v[10:11], v10
	v_cvt_f64_f32_e32 v[4:5], v4
	ds_read2_b64 v[14:17], v187 offset0:92 offset1:141
	v_mul_f64 v[10:11], v[10:11], s[2:3]
	v_mul_f64 v[4:5], v[4:5], s[2:3]
	v_cvt_f32_f64_e32 v10, v[10:11]
	v_cvt_f32_f64_e32 v11, v[4:5]
	v_add_co_u32_e32 v4, vcc, s5, v6
	v_mov_b32_e32 v5, s4
	v_addc_co_u32_e32 v5, vcc, v7, v5, vcc
	global_store_dwordx2 v[4:5], v[10:11], off
	buffer_load_dword v10, off, s[20:23], 0 offset:336 ; 4-byte Folded Reload
	s_nop 0
	buffer_load_dword v11, off, s[20:23], 0 offset:340 ; 4-byte Folded Reload
	s_waitcnt vmcnt(0) lgkmcnt(0)
	v_mul_f32_e32 v6, v11, v15
	v_fmac_f32_e32 v6, v10, v14
	v_cvt_f64_f32_e32 v[6:7], v6
	v_mul_f64 v[6:7], v[6:7], s[2:3]
	v_cvt_f32_f64_e32 v6, v[6:7]
	v_mul_f32_e32 v7, v11, v14
	v_fma_f32 v7, v10, v15, -v7
	v_cvt_f64_f32_e32 v[10:11], v7
	v_mul_f64 v[10:11], v[10:11], s[2:3]
	v_cvt_f32_f64_e32 v7, v[10:11]
	v_add_co_u32_e32 v10, vcc, s5, v4
	v_mov_b32_e32 v4, s4
	v_addc_co_u32_e32 v11, vcc, v5, v4, vcc
	global_store_dwordx2 v[10:11], v[6:7], off
	ds_read2_b64 v[4:7], v186 offset0:130 offset1:179
	buffer_load_dword v18, off, s[20:23], 0 offset:312 ; 4-byte Folded Reload
	buffer_load_dword v19, off, s[20:23], 0 offset:316 ; 4-byte Folded Reload
	s_waitcnt vmcnt(0) lgkmcnt(0)
	v_mul_f32_e32 v14, v19, v7
	v_fmac_f32_e32 v14, v18, v6
	v_mul_f32_e32 v6, v19, v6
	v_fma_f32 v6, v18, v7, -v6
	v_cvt_f64_f32_e32 v[14:15], v14
	v_cvt_f64_f32_e32 v[6:7], v6
	ds_read2_b64 v[18:21], v184 offset0:10 offset1:59
	v_mul_f64 v[14:15], v[14:15], s[2:3]
	v_mul_f64 v[6:7], v[6:7], s[2:3]
	v_cvt_f32_f64_e32 v14, v[14:15]
	v_cvt_f32_f64_e32 v15, v[6:7]
	v_add_co_u32_e32 v6, vcc, s5, v10
	v_mov_b32_e32 v7, s4
	v_addc_co_u32_e32 v7, vcc, v11, v7, vcc
	global_store_dwordx2 v[6:7], v[14:15], off
	buffer_load_dword v14, off, s[20:23], 0 offset:328 ; 4-byte Folded Reload
	s_nop 0
	buffer_load_dword v15, off, s[20:23], 0 offset:332 ; 4-byte Folded Reload
	v_add_co_u32_e32 v6, vcc, s5, v6
	s_waitcnt vmcnt(0) lgkmcnt(0)
	v_mul_f32_e32 v10, v15, v19
	v_fmac_f32_e32 v10, v14, v18
	v_cvt_f64_f32_e32 v[10:11], v10
	v_mul_f64 v[10:11], v[10:11], s[2:3]
	v_cvt_f32_f64_e32 v10, v[10:11]
	v_mul_f32_e32 v11, v15, v18
	v_fma_f32 v11, v14, v19, -v11
	v_cvt_f64_f32_e32 v[14:15], v11
	v_mul_f64 v[14:15], v[14:15], s[2:3]
	v_cvt_f32_f64_e32 v11, v[14:15]
	v_mov_b32_e32 v14, s4
	v_addc_co_u32_e32 v7, vcc, v7, v14, vcc
	global_store_dwordx2 v[6:7], v[10:11], off
	buffer_load_dword v14, off, s[20:23], 0 offset:368 ; 4-byte Folded Reload
	buffer_load_dword v15, off, s[20:23], 0 offset:372 ; 4-byte Folded Reload
	s_waitcnt vmcnt(0)
	v_mul_f32_e32 v10, v15, v9
	v_fmac_f32_e32 v10, v14, v8
	v_mul_f32_e32 v8, v15, v8
	v_fma_f32 v8, v14, v9, -v8
	v_cvt_f64_f32_e32 v[10:11], v10
	v_cvt_f64_f32_e32 v[8:9], v8
	v_add_co_u32_e32 v14, vcc, s0, v6
	v_mul_f64 v[10:11], v[10:11], s[2:3]
	v_mul_f64 v[8:9], v[8:9], s[2:3]
	v_mov_b32_e32 v6, s1
	v_addc_co_u32_e32 v15, vcc, v7, v6, vcc
	v_cvt_f32_f64_e32 v10, v[10:11]
	v_cvt_f32_f64_e32 v11, v[8:9]
	ds_read2_b64 v[6:9], v185 offset0:136 offset1:185
	global_store_dwordx2 v[14:15], v[10:11], off
	buffer_load_dword v18, off, s[20:23], 0 offset:320 ; 4-byte Folded Reload
	buffer_load_dword v19, off, s[20:23], 0 offset:324 ; 4-byte Folded Reload
	s_waitcnt vmcnt(0) lgkmcnt(0)
	v_mul_f32_e32 v10, v19, v7
	v_fmac_f32_e32 v10, v18, v6
	v_mul_f32_e32 v6, v19, v6
	v_fma_f32 v6, v18, v7, -v6
	v_cvt_f64_f32_e32 v[10:11], v10
	v_cvt_f64_f32_e32 v[6:7], v6
	v_mul_f64 v[10:11], v[10:11], s[2:3]
	v_mul_f64 v[6:7], v[6:7], s[2:3]
	v_cvt_f32_f64_e32 v10, v[10:11]
	v_cvt_f32_f64_e32 v11, v[6:7]
	v_add_co_u32_e32 v6, vcc, s5, v14
	v_mov_b32_e32 v7, s4
	v_addc_co_u32_e32 v7, vcc, v15, v7, vcc
	global_store_dwordx2 v[6:7], v[10:11], off
	buffer_load_dword v14, off, s[20:23], 0 offset:304 ; 4-byte Folded Reload
	buffer_load_dword v15, off, s[20:23], 0 offset:308 ; 4-byte Folded Reload
	v_add_co_u32_e32 v6, vcc, s5, v6
	s_waitcnt vmcnt(0)
	v_mul_f32_e32 v10, v15, v13
	v_fmac_f32_e32 v10, v14, v12
	v_cvt_f64_f32_e32 v[10:11], v10
	v_mul_f64 v[10:11], v[10:11], s[2:3]
	v_cvt_f32_f64_e32 v10, v[10:11]
	v_mul_f32_e32 v11, v15, v12
	v_fma_f32 v11, v14, v13, -v11
	v_cvt_f64_f32_e32 v[11:12], v11
	v_mul_f64 v[11:12], v[11:12], s[2:3]
	v_cvt_f32_f64_e32 v11, v[11:12]
	v_mov_b32_e32 v12, s4
	v_addc_co_u32_e32 v7, vcc, v7, v12, vcc
	global_store_dwordx2 v[6:7], v[10:11], off
	ds_read2_b64 v[10:13], v114 offset0:54 offset1:103
	buffer_load_dword v18, off, s[20:23], 0 offset:288 ; 4-byte Folded Reload
	buffer_load_dword v19, off, s[20:23], 0 offset:292 ; 4-byte Folded Reload
	v_add_co_u32_e32 v6, vcc, s5, v6
	s_waitcnt vmcnt(0) lgkmcnt(0)
	v_mul_f32_e32 v14, v19, v11
	v_fmac_f32_e32 v14, v18, v10
	v_mul_f32_e32 v10, v19, v10
	v_fma_f32 v10, v18, v11, -v10
	v_cvt_f64_f32_e32 v[14:15], v14
	v_cvt_f64_f32_e32 v[10:11], v10
	v_mul_f64 v[14:15], v[14:15], s[2:3]
	v_mul_f64 v[10:11], v[10:11], s[2:3]
	v_cvt_f32_f64_e32 v14, v[14:15]
	v_cvt_f32_f64_e32 v15, v[10:11]
	v_mov_b32_e32 v10, s4
	v_addc_co_u32_e32 v7, vcc, v7, v10, vcc
	global_store_dwordx2 v[6:7], v[14:15], off
	buffer_load_dword v14, off, s[20:23], 0 offset:272 ; 4-byte Folded Reload
	s_nop 0
	buffer_load_dword v15, off, s[20:23], 0 offset:276 ; 4-byte Folded Reload
	v_add_co_u32_e32 v6, vcc, s5, v6
	s_waitcnt vmcnt(0)
	v_mul_f32_e32 v10, v15, v17
	v_fmac_f32_e32 v10, v14, v16
	v_cvt_f64_f32_e32 v[10:11], v10
	v_mul_f64 v[10:11], v[10:11], s[2:3]
	v_cvt_f32_f64_e32 v10, v[10:11]
	v_mul_f32_e32 v11, v15, v16
	v_fma_f32 v11, v14, v17, -v11
	v_cvt_f64_f32_e32 v[14:15], v11
	v_mul_f64 v[14:15], v[14:15], s[2:3]
	v_cvt_f32_f64_e32 v11, v[14:15]
	v_mov_b32_e32 v14, s4
	v_addc_co_u32_e32 v7, vcc, v7, v14, vcc
	global_store_dwordx2 v[6:7], v[10:11], off
	ds_read2_b64 v[14:17], v194 offset0:100 offset1:149
	buffer_load_dword v18, off, s[20:23], 0 offset:240 ; 4-byte Folded Reload
	buffer_load_dword v19, off, s[20:23], 0 offset:244 ; 4-byte Folded Reload
	v_add_co_u32_e32 v6, vcc, s5, v6
	s_waitcnt vmcnt(0) lgkmcnt(0)
	v_mul_f32_e32 v10, v19, v15
	v_fmac_f32_e32 v10, v18, v14
	v_cvt_f64_f32_e32 v[10:11], v10
	v_mul_f64 v[10:11], v[10:11], s[2:3]
	v_cvt_f32_f64_e32 v10, v[10:11]
	v_mul_f32_e32 v11, v19, v14
	v_fma_f32 v11, v18, v15, -v11
	v_cvt_f64_f32_e32 v[14:15], v11
	v_mul_f64 v[14:15], v[14:15], s[2:3]
	v_cvt_f32_f64_e32 v11, v[14:15]
	v_mov_b32_e32 v14, s4
	v_addc_co_u32_e32 v7, vcc, v7, v14, vcc
	global_store_dwordx2 v[6:7], v[10:11], off
	buffer_load_dword v14, off, s[20:23], 0 offset:200 ; 4-byte Folded Reload
	buffer_load_dword v15, off, s[20:23], 0 offset:204 ; 4-byte Folded Reload
	v_add_co_u32_e32 v6, vcc, s5, v6
	s_waitcnt vmcnt(0)
	v_mul_f32_e32 v10, v15, v21
	v_fmac_f32_e32 v10, v14, v20
	v_cvt_f64_f32_e32 v[10:11], v10
	v_mul_f64 v[10:11], v[10:11], s[2:3]
	v_cvt_f32_f64_e32 v10, v[10:11]
	v_mul_f32_e32 v11, v15, v20
	v_fma_f32 v11, v14, v21, -v11
	v_cvt_f64_f32_e32 v[14:15], v11
	ds_read2_b64 v[18:21], v66 offset0:98 offset1:147
	v_mul_f64 v[14:15], v[14:15], s[2:3]
	v_cvt_f32_f64_e32 v11, v[14:15]
	v_mov_b32_e32 v14, s4
	v_addc_co_u32_e32 v7, vcc, v7, v14, vcc
	global_store_dwordx2 v[6:7], v[10:11], off
	buffer_load_dword v14, off, s[20:23], 0 offset:280 ; 4-byte Folded Reload
	buffer_load_dword v15, off, s[20:23], 0 offset:284 ; 4-byte Folded Reload
	v_add_co_u32_e32 v6, vcc, s0, v6
	s_waitcnt vmcnt(0) lgkmcnt(0)
	v_mul_f32_e32 v10, v15, v19
	v_fmac_f32_e32 v10, v14, v18
	v_cvt_f64_f32_e32 v[10:11], v10
	v_mul_f64 v[10:11], v[10:11], s[2:3]
	v_cvt_f32_f64_e32 v10, v[10:11]
	v_mul_f32_e32 v11, v15, v18
	v_fma_f32 v11, v14, v19, -v11
	v_cvt_f64_f32_e32 v[14:15], v11
	v_mul_f64 v[14:15], v[14:15], s[2:3]
	v_cvt_f32_f64_e32 v11, v[14:15]
	v_mov_b32_e32 v14, s1
	v_addc_co_u32_e32 v7, vcc, v7, v14, vcc
	global_store_dwordx2 v[6:7], v[10:11], off
	buffer_load_dword v14, off, s[20:23], 0 offset:248 ; 4-byte Folded Reload
	buffer_load_dword v15, off, s[20:23], 0 offset:252 ; 4-byte Folded Reload
	s_waitcnt vmcnt(0)
	v_mul_f32_e32 v10, v15, v9
	v_fmac_f32_e32 v10, v14, v8
	v_mul_f32_e32 v8, v15, v8
	v_fma_f32 v8, v14, v9, -v8
	v_cvt_f64_f32_e32 v[10:11], v10
	v_cvt_f64_f32_e32 v[8:9], v8
	v_add_co_u32_e32 v14, vcc, s5, v6
	v_mul_f64 v[10:11], v[10:11], s[2:3]
	v_mul_f64 v[8:9], v[8:9], s[2:3]
	v_mov_b32_e32 v6, s4
	v_addc_co_u32_e32 v15, vcc, v7, v6, vcc
	v_cvt_f32_f64_e32 v10, v[10:11]
	v_cvt_f32_f64_e32 v11, v[8:9]
	ds_read2_b64 v[6:9], v113 offset0:16 offset1:65
	global_store_dwordx2 v[14:15], v[10:11], off
	buffer_load_dword v18, off, s[20:23], 0 offset:216 ; 4-byte Folded Reload
	buffer_load_dword v19, off, s[20:23], 0 offset:220 ; 4-byte Folded Reload
	s_waitcnt vmcnt(0) lgkmcnt(0)
	v_mul_f32_e32 v10, v19, v7
	v_fmac_f32_e32 v10, v18, v6
	v_mul_f32_e32 v6, v19, v6
	v_fma_f32 v6, v18, v7, -v6
	v_cvt_f64_f32_e32 v[10:11], v10
	v_cvt_f64_f32_e32 v[6:7], v6
	v_mul_f64 v[10:11], v[10:11], s[2:3]
	v_mul_f64 v[6:7], v[6:7], s[2:3]
	v_cvt_f32_f64_e32 v10, v[10:11]
	v_cvt_f32_f64_e32 v11, v[6:7]
	v_add_co_u32_e32 v6, vcc, s5, v14
	v_mov_b32_e32 v7, s4
	v_addc_co_u32_e32 v7, vcc, v15, v7, vcc
	global_store_dwordx2 v[6:7], v[10:11], off
	buffer_load_dword v14, off, s[20:23], 0 offset:256 ; 4-byte Folded Reload
	buffer_load_dword v15, off, s[20:23], 0 offset:260 ; 4-byte Folded Reload
	v_add_co_u32_e32 v6, vcc, s5, v6
	s_waitcnt vmcnt(0)
	v_mul_f32_e32 v10, v15, v13
	v_fmac_f32_e32 v10, v14, v12
	v_cvt_f64_f32_e32 v[10:11], v10
	v_mul_f64 v[10:11], v[10:11], s[2:3]
	v_cvt_f32_f64_e32 v10, v[10:11]
	v_mul_f32_e32 v11, v15, v12
	v_fma_f32 v11, v14, v13, -v11
	v_cvt_f64_f32_e32 v[11:12], v11
	v_mul_f64 v[11:12], v[11:12], s[2:3]
	v_cvt_f32_f64_e32 v11, v[11:12]
	v_mov_b32_e32 v12, s4
	v_addc_co_u32_e32 v7, vcc, v7, v12, vcc
	global_store_dwordx2 v[6:7], v[10:11], off
	ds_read2_b64 v[10:13], v187 offset0:190 offset1:239
	buffer_load_dword v18, off, s[20:23], 0 offset:232 ; 4-byte Folded Reload
	buffer_load_dword v19, off, s[20:23], 0 offset:236 ; 4-byte Folded Reload
	v_add_co_u32_e32 v6, vcc, s5, v6
	s_waitcnt vmcnt(0) lgkmcnt(0)
	v_mul_f32_e32 v14, v19, v11
	v_fmac_f32_e32 v14, v18, v10
	v_mul_f32_e32 v10, v19, v10
	v_fma_f32 v10, v18, v11, -v10
	v_cvt_f64_f32_e32 v[14:15], v14
	v_cvt_f64_f32_e32 v[10:11], v10
	v_mul_f64 v[14:15], v[14:15], s[2:3]
	v_mul_f64 v[10:11], v[10:11], s[2:3]
	v_cvt_f32_f64_e32 v14, v[14:15]
	v_cvt_f32_f64_e32 v15, v[10:11]
	v_mov_b32_e32 v10, s4
	v_addc_co_u32_e32 v7, vcc, v7, v10, vcc
	global_store_dwordx2 v[6:7], v[14:15], off
	buffer_load_dword v14, off, s[20:23], 0 offset:208 ; 4-byte Folded Reload
	s_nop 0
	buffer_load_dword v15, off, s[20:23], 0 offset:212 ; 4-byte Folded Reload
	v_add_co_u32_e32 v6, vcc, s5, v6
	s_waitcnt vmcnt(0)
	v_mul_f32_e32 v10, v15, v17
	v_fmac_f32_e32 v10, v14, v16
	v_cvt_f64_f32_e32 v[10:11], v10
	v_mul_f64 v[10:11], v[10:11], s[2:3]
	v_cvt_f32_f64_e32 v10, v[10:11]
	v_mul_f32_e32 v11, v15, v16
	v_fma_f32 v11, v14, v17, -v11
	v_cvt_f64_f32_e32 v[14:15], v11
	v_mul_f64 v[14:15], v[14:15], s[2:3]
	v_cvt_f32_f64_e32 v11, v[14:15]
	v_mov_b32_e32 v14, s4
	v_addc_co_u32_e32 v7, vcc, v7, v14, vcc
	global_store_dwordx2 v[6:7], v[10:11], off
	ds_read2_b64 v[14:17], v184 offset0:108 offset1:157
	buffer_load_dword v18, off, s[20:23], 0 offset:184 ; 4-byte Folded Reload
	buffer_load_dword v19, off, s[20:23], 0 offset:188 ; 4-byte Folded Reload
	v_add_co_u32_e32 v6, vcc, s5, v6
	s_waitcnt vmcnt(0) lgkmcnt(0)
	v_mul_f32_e32 v10, v19, v15
	v_fmac_f32_e32 v10, v18, v14
	v_cvt_f64_f32_e32 v[10:11], v10
	v_mul_f64 v[10:11], v[10:11], s[2:3]
	v_cvt_f32_f64_e32 v10, v[10:11]
	v_mul_f32_e32 v11, v19, v14
	v_fma_f32 v11, v18, v15, -v11
	v_cvt_f64_f32_e32 v[14:15], v11
	v_mul_f64 v[14:15], v[14:15], s[2:3]
	v_cvt_f32_f64_e32 v11, v[14:15]
	v_mov_b32_e32 v14, s4
	v_addc_co_u32_e32 v7, vcc, v7, v14, vcc
	global_store_dwordx2 v[6:7], v[10:11], off
	buffer_load_dword v14, off, s[20:23], 0 offset:264 ; 4-byte Folded Reload
	buffer_load_dword v15, off, s[20:23], 0 offset:268 ; 4-byte Folded Reload
	v_add_co_u32_e32 v6, vcc, s0, v6
	s_waitcnt vmcnt(0)
	v_mul_f32_e32 v10, v15, v21
	v_fmac_f32_e32 v10, v14, v20
	v_cvt_f64_f32_e32 v[10:11], v10
	v_mul_f64 v[10:11], v[10:11], s[2:3]
	v_cvt_f32_f64_e32 v10, v[10:11]
	v_mul_f32_e32 v11, v15, v20
	v_fma_f32 v11, v14, v21, -v11
	v_cvt_f64_f32_e32 v[14:15], v11
	ds_read2_b64 v[18:21], v192 offset0:106 offset1:155
	v_mul_f64 v[14:15], v[14:15], s[2:3]
	v_cvt_f32_f64_e32 v11, v[14:15]
	v_mov_b32_e32 v14, s1
	v_addc_co_u32_e32 v7, vcc, v7, v14, vcc
	global_store_dwordx2 v[6:7], v[10:11], off
	buffer_load_dword v14, off, s[20:23], 0 offset:224 ; 4-byte Folded Reload
	buffer_load_dword v15, off, s[20:23], 0 offset:228 ; 4-byte Folded Reload
	v_add_co_u32_e32 v6, vcc, s5, v6
	s_waitcnt vmcnt(0) lgkmcnt(0)
	v_mul_f32_e32 v10, v15, v19
	v_fmac_f32_e32 v10, v14, v18
	v_cvt_f64_f32_e32 v[10:11], v10
	v_mul_f64 v[10:11], v[10:11], s[2:3]
	v_cvt_f32_f64_e32 v10, v[10:11]
	v_mul_f32_e32 v11, v15, v18
	v_fma_f32 v11, v14, v19, -v11
	v_cvt_f64_f32_e32 v[14:15], v11
	v_mul_f64 v[14:15], v[14:15], s[2:3]
	v_cvt_f32_f64_e32 v11, v[14:15]
	v_mov_b32_e32 v14, s4
	v_addc_co_u32_e32 v7, vcc, v7, v14, vcc
	global_store_dwordx2 v[6:7], v[10:11], off
	buffer_load_dword v14, off, s[20:23], 0 offset:192 ; 4-byte Folded Reload
	buffer_load_dword v15, off, s[20:23], 0 offset:196 ; 4-byte Folded Reload
	s_waitcnt vmcnt(0)
	v_mul_f32_e32 v10, v15, v9
	v_fmac_f32_e32 v10, v14, v8
	v_mul_f32_e32 v8, v15, v8
	v_fma_f32 v8, v14, v9, -v8
	v_cvt_f64_f32_e32 v[10:11], v10
	v_cvt_f64_f32_e32 v[8:9], v8
	v_add_co_u32_e32 v14, vcc, s5, v6
	v_mul_f64 v[10:11], v[10:11], s[2:3]
	v_mul_f64 v[8:9], v[8:9], s[2:3]
	v_mov_b32_e32 v6, s4
	v_addc_co_u32_e32 v15, vcc, v7, v6, vcc
	v_cvt_f32_f64_e32 v10, v[10:11]
	v_cvt_f32_f64_e32 v11, v[8:9]
	ds_read2_b64 v[6:9], v114 offset0:152 offset1:201
	global_store_dwordx2 v[14:15], v[10:11], off
	buffer_load_dword v18, off, s[20:23], 0 offset:176 ; 4-byte Folded Reload
	buffer_load_dword v19, off, s[20:23], 0 offset:180 ; 4-byte Folded Reload
	s_waitcnt vmcnt(0) lgkmcnt(0)
	v_mul_f32_e32 v10, v19, v7
	v_fmac_f32_e32 v10, v18, v6
	v_mul_f32_e32 v6, v19, v6
	v_fma_f32 v6, v18, v7, -v6
	v_cvt_f64_f32_e32 v[10:11], v10
	v_cvt_f64_f32_e32 v[6:7], v6
	v_mul_f64 v[10:11], v[10:11], s[2:3]
	v_mul_f64 v[6:7], v[6:7], s[2:3]
	v_cvt_f32_f64_e32 v10, v[10:11]
	v_cvt_f32_f64_e32 v11, v[6:7]
	v_add_co_u32_e32 v6, vcc, s5, v14
	v_mov_b32_e32 v7, s4
	v_addc_co_u32_e32 v7, vcc, v15, v7, vcc
	global_store_dwordx2 v[6:7], v[10:11], off
	buffer_load_dword v14, off, s[20:23], 0 offset:160 ; 4-byte Folded Reload
	buffer_load_dword v15, off, s[20:23], 0 offset:164 ; 4-byte Folded Reload
	v_add_co_u32_e32 v6, vcc, s5, v6
	s_waitcnt vmcnt(0)
	v_mul_f32_e32 v10, v15, v13
	v_fmac_f32_e32 v10, v14, v12
	v_cvt_f64_f32_e32 v[10:11], v10
	v_mul_f64 v[10:11], v[10:11], s[2:3]
	v_cvt_f32_f64_e32 v10, v[10:11]
	v_mul_f32_e32 v11, v15, v12
	v_fma_f32 v11, v14, v13, -v11
	v_cvt_f64_f32_e32 v[11:12], v11
	v_mul_f64 v[11:12], v[11:12], s[2:3]
	v_cvt_f32_f64_e32 v11, v[11:12]
	v_mov_b32_e32 v12, s4
	v_addc_co_u32_e32 v7, vcc, v7, v12, vcc
	global_store_dwordx2 v[6:7], v[10:11], off
	ds_read2_b64 v[10:13], v115 offset0:70 offset1:119
	buffer_load_dword v18, off, s[20:23], 0 offset:136 ; 4-byte Folded Reload
	buffer_load_dword v19, off, s[20:23], 0 offset:140 ; 4-byte Folded Reload
	v_add_co_u32_e32 v6, vcc, s5, v6
	s_waitcnt vmcnt(0) lgkmcnt(0)
	v_mul_f32_e32 v14, v19, v11
	v_fmac_f32_e32 v14, v18, v10
	v_mul_f32_e32 v10, v19, v10
	v_fma_f32 v10, v18, v11, -v10
	v_cvt_f64_f32_e32 v[14:15], v14
	v_cvt_f64_f32_e32 v[10:11], v10
	v_mul_f64 v[14:15], v[14:15], s[2:3]
	v_mul_f64 v[10:11], v[10:11], s[2:3]
	v_cvt_f32_f64_e32 v14, v[14:15]
	v_cvt_f32_f64_e32 v15, v[10:11]
	v_mov_b32_e32 v10, s4
	v_addc_co_u32_e32 v7, vcc, v7, v10, vcc
	global_store_dwordx2 v[6:7], v[14:15], off
	buffer_load_dword v14, off, s[20:23], 0 offset:104 ; 4-byte Folded Reload
	s_nop 0
	buffer_load_dword v15, off, s[20:23], 0 offset:108 ; 4-byte Folded Reload
	v_add_co_u32_e32 v6, vcc, s5, v6
	s_waitcnt vmcnt(0)
	v_mul_f32_e32 v10, v15, v17
	v_fmac_f32_e32 v10, v14, v16
	v_cvt_f64_f32_e32 v[10:11], v10
	v_mul_f64 v[10:11], v[10:11], s[2:3]
	v_cvt_f32_f64_e32 v10, v[10:11]
	v_mul_f32_e32 v11, v15, v16
	v_fma_f32 v11, v14, v17, -v11
	v_cvt_f64_f32_e32 v[14:15], v11
	v_mul_f64 v[14:15], v[14:15], s[2:3]
	v_cvt_f32_f64_e32 v11, v[14:15]
	v_mov_b32_e32 v14, s4
	v_addc_co_u32_e32 v7, vcc, v7, v14, vcc
	global_store_dwordx2 v[6:7], v[10:11], off
	ds_read2_b64 v[14:17], v66 offset0:196 offset1:245
	buffer_load_dword v18, off, s[20:23], 0 offset:168 ; 4-byte Folded Reload
	buffer_load_dword v19, off, s[20:23], 0 offset:172 ; 4-byte Folded Reload
	v_add_co_u32_e32 v6, vcc, s0, v6
	s_waitcnt vmcnt(0) lgkmcnt(0)
	v_mul_f32_e32 v10, v19, v15
	v_fmac_f32_e32 v10, v18, v14
	v_cvt_f64_f32_e32 v[10:11], v10
	v_mul_f64 v[10:11], v[10:11], s[2:3]
	v_cvt_f32_f64_e32 v10, v[10:11]
	v_mul_f32_e32 v11, v19, v14
	v_fma_f32 v11, v18, v15, -v11
	v_cvt_f64_f32_e32 v[14:15], v11
	v_mul_f64 v[14:15], v[14:15], s[2:3]
	v_cvt_f32_f64_e32 v11, v[14:15]
	v_mov_b32_e32 v14, s1
	v_addc_co_u32_e32 v7, vcc, v7, v14, vcc
	global_store_dwordx2 v[6:7], v[10:11], off
	buffer_load_dword v14, off, s[20:23], 0 offset:144 ; 4-byte Folded Reload
	buffer_load_dword v15, off, s[20:23], 0 offset:148 ; 4-byte Folded Reload
	v_add_co_u32_e32 v6, vcc, s5, v6
	s_waitcnt vmcnt(0)
	v_mul_f32_e32 v10, v15, v21
	v_fmac_f32_e32 v10, v14, v20
	v_cvt_f64_f32_e32 v[10:11], v10
	v_mul_f64 v[10:11], v[10:11], s[2:3]
	v_cvt_f32_f64_e32 v10, v[10:11]
	v_mul_f32_e32 v11, v15, v20
	v_fma_f32 v11, v14, v21, -v11
	v_cvt_f64_f32_e32 v[14:15], v11
	ds_read2_b64 v[18:21], v113 offset0:114 offset1:163
	v_mul_f64 v[14:15], v[14:15], s[2:3]
	v_cvt_f32_f64_e32 v11, v[14:15]
	v_mov_b32_e32 v14, s4
	v_addc_co_u32_e32 v7, vcc, v7, v14, vcc
	global_store_dwordx2 v[6:7], v[10:11], off
	buffer_load_dword v14, off, s[20:23], 0 offset:112 ; 4-byte Folded Reload
	buffer_load_dword v15, off, s[20:23], 0 offset:116 ; 4-byte Folded Reload
	v_add_co_u32_e32 v6, vcc, s5, v6
	s_waitcnt vmcnt(0) lgkmcnt(0)
	v_mul_f32_e32 v10, v15, v19
	v_fmac_f32_e32 v10, v14, v18
	v_cvt_f64_f32_e32 v[10:11], v10
	v_mul_f64 v[10:11], v[10:11], s[2:3]
	v_cvt_f32_f64_e32 v10, v[10:11]
	v_mul_f32_e32 v11, v15, v18
	v_fma_f32 v11, v14, v19, -v11
	v_cvt_f64_f32_e32 v[14:15], v11
	v_mul_f64 v[14:15], v[14:15], s[2:3]
	v_cvt_f32_f64_e32 v11, v[14:15]
	v_mov_b32_e32 v14, s4
	v_addc_co_u32_e32 v7, vcc, v7, v14, vcc
	global_store_dwordx2 v[6:7], v[10:11], off
	buffer_load_dword v14, off, s[20:23], 0 offset:64 ; 4-byte Folded Reload
	buffer_load_dword v15, off, s[20:23], 0 offset:68 ; 4-byte Folded Reload
	s_waitcnt vmcnt(0)
	v_mul_f32_e32 v10, v15, v9
	v_fmac_f32_e32 v10, v14, v8
	v_mul_f32_e32 v8, v15, v8
	v_fma_f32 v8, v14, v9, -v8
	v_cvt_f64_f32_e32 v[10:11], v10
	v_cvt_f64_f32_e32 v[8:9], v8
	v_add_co_u32_e32 v14, vcc, s5, v6
	v_mul_f64 v[10:11], v[10:11], s[2:3]
	v_mul_f64 v[8:9], v[8:9], s[2:3]
	v_mov_b32_e32 v6, s4
	v_addc_co_u32_e32 v15, vcc, v7, v6, vcc
	v_cvt_f32_f64_e32 v10, v[10:11]
	v_cvt_f32_f64_e32 v11, v[8:9]
	ds_read2_b64 v[6:9], v186 offset0:32 offset1:81
	global_store_dwordx2 v[14:15], v[10:11], off
	buffer_load_dword v18, off, s[20:23], 0 offset:128 ; 4-byte Folded Reload
	buffer_load_dword v19, off, s[20:23], 0 offset:132 ; 4-byte Folded Reload
	s_waitcnt vmcnt(0) lgkmcnt(0)
	v_mul_f32_e32 v10, v19, v7
	v_fmac_f32_e32 v10, v18, v6
	v_mul_f32_e32 v6, v19, v6
	v_fma_f32 v6, v18, v7, -v6
	v_cvt_f64_f32_e32 v[10:11], v10
	v_cvt_f64_f32_e32 v[6:7], v6
	v_mul_f64 v[10:11], v[10:11], s[2:3]
	v_mul_f64 v[6:7], v[6:7], s[2:3]
	v_cvt_f32_f64_e32 v10, v[10:11]
	v_cvt_f32_f64_e32 v11, v[6:7]
	v_add_co_u32_e32 v6, vcc, s5, v14
	v_mov_b32_e32 v7, s4
	v_addc_co_u32_e32 v7, vcc, v15, v7, vcc
	global_store_dwordx2 v[6:7], v[10:11], off
	buffer_load_dword v14, off, s[20:23], 0 offset:80 ; 4-byte Folded Reload
	buffer_load_dword v15, off, s[20:23], 0 offset:84 ; 4-byte Folded Reload
	v_add_co_u32_e32 v6, vcc, s5, v6
	s_waitcnt vmcnt(0)
	v_mul_f32_e32 v10, v15, v13
	v_fmac_f32_e32 v10, v14, v12
	v_cvt_f64_f32_e32 v[10:11], v10
	v_mul_f64 v[10:11], v[10:11], s[2:3]
	v_cvt_f32_f64_e32 v10, v[10:11]
	v_mul_f32_e32 v11, v15, v12
	v_fma_f32 v11, v14, v13, -v11
	v_cvt_f64_f32_e32 v[11:12], v11
	v_mul_f64 v[11:12], v[11:12], s[2:3]
	v_cvt_f32_f64_e32 v11, v[11:12]
	v_mov_b32_e32 v12, s4
	v_addc_co_u32_e32 v7, vcc, v7, v12, vcc
	global_store_dwordx2 v[6:7], v[10:11], off
	ds_read2_b64 v[10:13], v184 offset0:206 offset1:255
	buffer_load_dword v18, off, s[20:23], 0 offset:56 ; 4-byte Folded Reload
	buffer_load_dword v19, off, s[20:23], 0 offset:60 ; 4-byte Folded Reload
	v_add_co_u32_e32 v6, vcc, s5, v6
	s_waitcnt vmcnt(0) lgkmcnt(0)
	v_mul_f32_e32 v14, v19, v11
	v_fmac_f32_e32 v14, v18, v10
	v_mul_f32_e32 v10, v19, v10
	v_fma_f32 v10, v18, v11, -v10
	v_cvt_f64_f32_e32 v[14:15], v14
	v_cvt_f64_f32_e32 v[10:11], v10
	v_mul_f64 v[14:15], v[14:15], s[2:3]
	v_mul_f64 v[10:11], v[10:11], s[2:3]
	v_cvt_f32_f64_e32 v14, v[14:15]
	v_cvt_f32_f64_e32 v15, v[10:11]
	v_mov_b32_e32 v10, s4
	v_addc_co_u32_e32 v7, vcc, v7, v10, vcc
	global_store_dwordx2 v[6:7], v[14:15], off
	buffer_load_dword v14, off, s[20:23], 0 offset:152 ; 4-byte Folded Reload
	s_nop 0
	buffer_load_dword v15, off, s[20:23], 0 offset:156 ; 4-byte Folded Reload
	v_add_co_u32_e32 v6, vcc, s0, v6
	s_waitcnt vmcnt(0)
	v_mul_f32_e32 v10, v15, v17
	v_fmac_f32_e32 v10, v14, v16
	v_cvt_f64_f32_e32 v[10:11], v10
	v_mul_f64 v[10:11], v[10:11], s[2:3]
	v_cvt_f32_f64_e32 v10, v[10:11]
	v_mul_f32_e32 v11, v15, v16
	v_fma_f32 v11, v14, v17, -v11
	v_cvt_f64_f32_e32 v[14:15], v11
	v_mul_f64 v[14:15], v[14:15], s[2:3]
	v_cvt_f32_f64_e32 v11, v[14:15]
	v_mov_b32_e32 v14, s1
	v_addc_co_u32_e32 v7, vcc, v7, v14, vcc
	global_store_dwordx2 v[6:7], v[10:11], off
	ds_read2_b64 v[14:17], v112 offset0:76 offset1:125
	buffer_load_dword v18, off, s[20:23], 0 offset:120 ; 4-byte Folded Reload
	buffer_load_dword v19, off, s[20:23], 0 offset:124 ; 4-byte Folded Reload
	v_add_co_u32_e32 v6, vcc, s5, v6
	s_waitcnt vmcnt(0) lgkmcnt(0)
	v_mul_f32_e32 v10, v19, v15
	v_fmac_f32_e32 v10, v18, v14
	v_cvt_f64_f32_e32 v[10:11], v10
	v_mul_f64 v[10:11], v[10:11], s[2:3]
	v_cvt_f32_f64_e32 v10, v[10:11]
	v_mul_f32_e32 v11, v19, v14
	v_fma_f32 v11, v18, v15, -v11
	v_cvt_f64_f32_e32 v[14:15], v11
	v_mul_f64 v[14:15], v[14:15], s[2:3]
	v_cvt_f32_f64_e32 v11, v[14:15]
	v_mov_b32_e32 v14, s4
	v_addc_co_u32_e32 v7, vcc, v7, v14, vcc
	global_store_dwordx2 v[6:7], v[10:11], off
	buffer_load_dword v14, off, s[20:23], 0 offset:72 ; 4-byte Folded Reload
	buffer_load_dword v15, off, s[20:23], 0 offset:76 ; 4-byte Folded Reload
	v_add_co_u32_e32 v6, vcc, s5, v6
	s_waitcnt vmcnt(0)
	v_mul_f32_e32 v10, v15, v21
	v_fmac_f32_e32 v10, v14, v20
	v_cvt_f64_f32_e32 v[10:11], v10
	v_mul_f64 v[10:11], v[10:11], s[2:3]
	v_cvt_f32_f64_e32 v10, v[10:11]
	v_mul_f32_e32 v11, v15, v20
	v_fma_f32 v11, v14, v21, -v11
	v_cvt_f64_f32_e32 v[14:15], v11
	ds_read2_b64 v[18:21], v193 offset0:122 offset1:171
	v_mul_f64 v[14:15], v[14:15], s[2:3]
	v_cvt_f32_f64_e32 v11, v[14:15]
	v_mov_b32_e32 v14, s4
	v_addc_co_u32_e32 v7, vcc, v7, v14, vcc
	global_store_dwordx2 v[6:7], v[10:11], off
	buffer_load_dword v14, off, s[20:23], 0 offset:48 ; 4-byte Folded Reload
	buffer_load_dword v15, off, s[20:23], 0 offset:52 ; 4-byte Folded Reload
	v_add_co_u32_e32 v6, vcc, s5, v6
	s_waitcnt vmcnt(0) lgkmcnt(0)
	v_mul_f32_e32 v10, v15, v19
	v_fmac_f32_e32 v10, v14, v18
	v_cvt_f64_f32_e32 v[10:11], v10
	v_mul_f64 v[10:11], v[10:11], s[2:3]
	v_cvt_f32_f64_e32 v10, v[10:11]
	v_mul_f32_e32 v11, v15, v18
	v_fma_f32 v11, v14, v19, -v11
	v_cvt_f64_f32_e32 v[14:15], v11
	v_mul_f64 v[14:15], v[14:15], s[2:3]
	v_cvt_f32_f64_e32 v11, v[14:15]
	v_mov_b32_e32 v14, s4
	v_addc_co_u32_e32 v7, vcc, v7, v14, vcc
	global_store_dwordx2 v[6:7], v[10:11], off
	buffer_load_dword v14, off, s[20:23], 0 offset:24 ; 4-byte Folded Reload
	buffer_load_dword v15, off, s[20:23], 0 offset:28 ; 4-byte Folded Reload
	s_waitcnt vmcnt(0)
	v_mul_f32_e32 v10, v15, v9
	v_fmac_f32_e32 v10, v14, v8
	v_mul_f32_e32 v8, v15, v8
	v_fma_f32 v8, v14, v9, -v8
	v_cvt_f64_f32_e32 v[10:11], v10
	v_cvt_f64_f32_e32 v[8:9], v8
	v_add_co_u32_e32 v14, vcc, s5, v6
	v_mul_f64 v[10:11], v[10:11], s[2:3]
	v_mul_f64 v[8:9], v[8:9], s[2:3]
	v_mov_b32_e32 v6, s4
	v_addc_co_u32_e32 v15, vcc, v7, v6, vcc
	v_cvt_f32_f64_e32 v10, v[10:11]
	v_cvt_f32_f64_e32 v11, v[8:9]
	ds_read2_b64 v[6:9], v115 offset0:168 offset1:217
	global_store_dwordx2 v[14:15], v[10:11], off
	buffer_load_dword v18, off, s[20:23], 0 offset:8 ; 4-byte Folded Reload
	buffer_load_dword v19, off, s[20:23], 0 offset:12 ; 4-byte Folded Reload
	s_waitcnt vmcnt(0) lgkmcnt(0)
	v_mul_f32_e32 v10, v19, v7
	v_fmac_f32_e32 v10, v18, v6
	v_mul_f32_e32 v6, v19, v6
	v_fma_f32 v6, v18, v7, -v6
	v_cvt_f64_f32_e32 v[10:11], v10
	v_cvt_f64_f32_e32 v[6:7], v6
	v_mul_f64 v[10:11], v[10:11], s[2:3]
	v_mul_f64 v[6:7], v[6:7], s[2:3]
	v_cvt_f32_f64_e32 v10, v[10:11]
	v_cvt_f32_f64_e32 v11, v[6:7]
	v_add_co_u32_e32 v6, vcc, s5, v14
	v_mov_b32_e32 v7, s4
	v_addc_co_u32_e32 v7, vcc, v15, v7, vcc
	global_store_dwordx2 v[6:7], v[10:11], off
	buffer_load_dword v14, off, s[20:23], 0 ; 4-byte Folded Reload
	buffer_load_dword v15, off, s[20:23], 0 offset:4 ; 4-byte Folded Reload
	v_add_co_u32_e32 v6, vcc, s5, v6
	s_waitcnt vmcnt(0)
	v_mul_f32_e32 v10, v15, v13
	v_fmac_f32_e32 v10, v14, v12
	v_cvt_f64_f32_e32 v[10:11], v10
	v_mul_f64 v[10:11], v[10:11], s[2:3]
	v_cvt_f32_f64_e32 v10, v[10:11]
	v_mul_f32_e32 v11, v15, v12
	v_fma_f32 v11, v14, v13, -v11
	v_cvt_f64_f32_e32 v[11:12], v11
	v_mul_f64 v[11:12], v[11:12], s[2:3]
	v_cvt_f32_f64_e32 v11, v[11:12]
	v_mov_b32_e32 v12, s4
	v_addc_co_u32_e32 v7, vcc, v7, v12, vcc
	global_store_dwordx2 v[6:7], v[10:11], off
	buffer_load_dword v11, off, s[20:23], 0 offset:40 ; 4-byte Folded Reload
	s_nop 0
	buffer_load_dword v12, off, s[20:23], 0 offset:44 ; 4-byte Folded Reload
	s_waitcnt vmcnt(0)
	v_mul_f32_e32 v10, v12, v1
	v_mov_b32_e32 v13, v12
	v_fmac_f32_e32 v10, v11, v0
	v_mov_b32_e32 v12, v11
	v_mul_f32_e32 v0, v13, v0
	v_fma_f32 v0, v12, v1, -v0
	v_cvt_f64_f32_e32 v[10:11], v10
	v_cvt_f64_f32_e32 v[0:1], v0
	v_mul_f64 v[10:11], v[10:11], s[2:3]
	v_mul_f64 v[0:1], v[0:1], s[2:3]
	v_cvt_f32_f64_e32 v10, v[10:11]
	v_cvt_f32_f64_e32 v11, v[0:1]
	v_add_co_u32_e32 v0, vcc, s0, v6
	v_mov_b32_e32 v1, s1
	v_addc_co_u32_e32 v1, vcc, v7, v1, vcc
	global_store_dwordx2 v[0:1], v[10:11], off
	buffer_load_dword v10, off, s[20:23], 0 offset:32 ; 4-byte Folded Reload
	s_nop 0
	buffer_load_dword v11, off, s[20:23], 0 offset:36 ; 4-byte Folded Reload
	v_add_co_u32_e32 v0, vcc, s5, v0
	s_waitcnt vmcnt(0)
	v_mul_f32_e32 v6, v11, v17
	v_fmac_f32_e32 v6, v10, v16
	v_cvt_f64_f32_e32 v[6:7], v6
	v_mul_f64 v[6:7], v[6:7], s[2:3]
	v_cvt_f32_f64_e32 v6, v[6:7]
	v_mul_f32_e32 v7, v11, v16
	v_fma_f32 v7, v10, v17, -v7
	v_cvt_f64_f32_e32 v[10:11], v7
	v_mul_f64 v[10:11], v[10:11], s[2:3]
	v_cvt_f32_f64_e32 v7, v[10:11]
	v_mov_b32_e32 v10, s4
	v_addc_co_u32_e32 v1, vcc, v1, v10, vcc
	global_store_dwordx2 v[0:1], v[6:7], off
	buffer_load_dword v10, off, s[20:23], 0 offset:16 ; 4-byte Folded Reload
	buffer_load_dword v11, off, s[20:23], 0 offset:20 ; 4-byte Folded Reload
	v_add_co_u32_e32 v0, vcc, s5, v0
	s_waitcnt vmcnt(0)
	v_mul_f32_e32 v6, v11, v3
	v_fmac_f32_e32 v6, v10, v2
	v_mul_f32_e32 v2, v11, v2
	v_fma_f32 v2, v10, v3, -v2
	v_cvt_f64_f32_e32 v[6:7], v6
	v_cvt_f64_f32_e32 v[2:3], v2
	v_mul_f64 v[6:7], v[6:7], s[2:3]
	v_mul_f64 v[2:3], v[2:3], s[2:3]
	v_cvt_f32_f64_e32 v6, v[6:7]
	v_cvt_f32_f64_e32 v7, v[2:3]
	v_mov_b32_e32 v2, s4
	v_addc_co_u32_e32 v1, vcc, v1, v2, vcc
	global_store_dwordx2 v[0:1], v[6:7], off
	buffer_load_dword v6, off, s[20:23], 0 offset:96 ; 4-byte Folded Reload
	s_nop 0
	buffer_load_dword v7, off, s[20:23], 0 offset:100 ; 4-byte Folded Reload
	v_add_co_u32_e32 v0, vcc, s5, v0
	s_waitcnt vmcnt(0)
	v_mul_f32_e32 v2, v7, v21
	v_fmac_f32_e32 v2, v6, v20
	v_cvt_f64_f32_e32 v[2:3], v2
	v_mul_f64 v[2:3], v[2:3], s[2:3]
	v_cvt_f32_f64_e32 v2, v[2:3]
	v_mul_f32_e32 v3, v7, v20
	v_fma_f32 v3, v6, v21, -v3
	v_cvt_f64_f32_e32 v[6:7], v3
	v_mul_f64 v[6:7], v[6:7], s[2:3]
	v_cvt_f32_f64_e32 v3, v[6:7]
	v_mov_b32_e32 v6, s4
	v_addc_co_u32_e32 v1, vcc, v1, v6, vcc
	global_store_dwordx2 v[0:1], v[2:3], off
	buffer_load_dword v6, off, s[20:23], 0 offset:88 ; 4-byte Folded Reload
	buffer_load_dword v7, off, s[20:23], 0 offset:92 ; 4-byte Folded Reload
	v_add_co_u32_e32 v0, vcc, s5, v0
	s_waitcnt vmcnt(0)
	v_mul_f32_e32 v2, v7, v5
	v_fmac_f32_e32 v2, v6, v4
	v_cvt_f64_f32_e32 v[2:3], v2
	v_mul_f64 v[2:3], v[2:3], s[2:3]
	v_cvt_f32_f64_e32 v2, v[2:3]
	v_mul_f32_e32 v3, v7, v4
	v_fma_f32 v3, v6, v5, -v3
	v_cvt_f64_f32_e32 v[3:4], v3
	v_mul_f64 v[3:4], v[3:4], s[2:3]
	v_cvt_f32_f64_e32 v3, v[3:4]
	v_mov_b32_e32 v4, s4
	v_addc_co_u32_e32 v1, vcc, v1, v4, vcc
	global_store_dwordx2 v[0:1], v[2:3], off
	buffer_load_dword v3, off, s[20:23], 0 offset:296 ; 4-byte Folded Reload
	s_nop 0
	buffer_load_dword v4, off, s[20:23], 0 offset:300 ; 4-byte Folded Reload
	v_add_co_u32_e32 v0, vcc, s5, v0
	s_waitcnt vmcnt(0)
	v_mul_f32_e32 v2, v4, v9
	v_fmac_f32_e32 v2, v3, v8
	v_mov_b32_e32 v5, v4
	v_mov_b32_e32 v4, v3
	v_cvt_f64_f32_e32 v[2:3], v2
	v_mul_f64 v[2:3], v[2:3], s[2:3]
	v_cvt_f32_f64_e32 v2, v[2:3]
	v_mul_f32_e32 v3, v5, v8
	v_fma_f32 v3, v4, v9, -v3
	v_cvt_f64_f32_e32 v[3:4], v3
	v_mul_f64 v[3:4], v[3:4], s[2:3]
	v_cvt_f32_f64_e32 v3, v[3:4]
	v_mov_b32_e32 v4, s4
	v_addc_co_u32_e32 v1, vcc, v1, v4, vcc
	global_store_dwordx2 v[0:1], v[2:3], off
	ds_read_b64 v[2:3], v66 offset:18816
	buffer_load_dword v5, off, s[20:23], 0 offset:384 ; 4-byte Folded Reload
	buffer_load_dword v6, off, s[20:23], 0 offset:388 ; 4-byte Folded Reload
	v_add_co_u32_e32 v0, vcc, s5, v0
	s_waitcnt vmcnt(0) lgkmcnt(0)
	v_mul_f32_e32 v4, v6, v3
	v_mov_b32_e32 v7, v6
	v_fmac_f32_e32 v4, v5, v2
	v_mov_b32_e32 v6, v5
	v_mul_f32_e32 v2, v7, v2
	v_fma_f32 v2, v6, v3, -v2
	v_cvt_f64_f32_e32 v[4:5], v4
	v_cvt_f64_f32_e32 v[2:3], v2
	v_mul_f64 v[4:5], v[4:5], s[2:3]
	v_mul_f64 v[2:3], v[2:3], s[2:3]
	v_cvt_f32_f64_e32 v4, v[4:5]
	v_cvt_f32_f64_e32 v5, v[2:3]
	v_mov_b32_e32 v2, s4
	v_addc_co_u32_e32 v1, vcc, v1, v2, vcc
	global_store_dwordx2 v[0:1], v[4:5], off
.LBB0_2:
	s_endpgm
	.section	.rodata,"a",@progbits
	.p2align	6, 0x0
	.amdhsa_kernel bluestein_single_fwd_len2401_dim1_sp_op_CI_CI
		.amdhsa_group_segment_fixed_size 19208
		.amdhsa_private_segment_fixed_size 1012
		.amdhsa_kernarg_size 104
		.amdhsa_user_sgpr_count 6
		.amdhsa_user_sgpr_private_segment_buffer 1
		.amdhsa_user_sgpr_dispatch_ptr 0
		.amdhsa_user_sgpr_queue_ptr 0
		.amdhsa_user_sgpr_kernarg_segment_ptr 1
		.amdhsa_user_sgpr_dispatch_id 0
		.amdhsa_user_sgpr_flat_scratch_init 0
		.amdhsa_user_sgpr_private_segment_size 0
		.amdhsa_uses_dynamic_stack 0
		.amdhsa_system_sgpr_private_segment_wavefront_offset 1
		.amdhsa_system_sgpr_workgroup_id_x 1
		.amdhsa_system_sgpr_workgroup_id_y 0
		.amdhsa_system_sgpr_workgroup_id_z 0
		.amdhsa_system_sgpr_workgroup_info 0
		.amdhsa_system_vgpr_workitem_id 0
		.amdhsa_next_free_vgpr 256
		.amdhsa_next_free_sgpr 24
		.amdhsa_reserve_vcc 1
		.amdhsa_reserve_flat_scratch 0
		.amdhsa_float_round_mode_32 0
		.amdhsa_float_round_mode_16_64 0
		.amdhsa_float_denorm_mode_32 3
		.amdhsa_float_denorm_mode_16_64 3
		.amdhsa_dx10_clamp 1
		.amdhsa_ieee_mode 1
		.amdhsa_fp16_overflow 0
		.amdhsa_exception_fp_ieee_invalid_op 0
		.amdhsa_exception_fp_denorm_src 0
		.amdhsa_exception_fp_ieee_div_zero 0
		.amdhsa_exception_fp_ieee_overflow 0
		.amdhsa_exception_fp_ieee_underflow 0
		.amdhsa_exception_fp_ieee_inexact 0
		.amdhsa_exception_int_div_zero 0
	.end_amdhsa_kernel
	.text
.Lfunc_end0:
	.size	bluestein_single_fwd_len2401_dim1_sp_op_CI_CI, .Lfunc_end0-bluestein_single_fwd_len2401_dim1_sp_op_CI_CI
                                        ; -- End function
	.section	.AMDGPU.csdata,"",@progbits
; Kernel info:
; codeLenInByte = 50064
; NumSgprs: 28
; NumVgprs: 256
; ScratchSize: 1012
; MemoryBound: 0
; FloatMode: 240
; IeeeMode: 1
; LDSByteSize: 19208 bytes/workgroup (compile time only)
; SGPRBlocks: 3
; VGPRBlocks: 63
; NumSGPRsForWavesPerEU: 28
; NumVGPRsForWavesPerEU: 256
; Occupancy: 1
; WaveLimiterHint : 1
; COMPUTE_PGM_RSRC2:SCRATCH_EN: 1
; COMPUTE_PGM_RSRC2:USER_SGPR: 6
; COMPUTE_PGM_RSRC2:TRAP_HANDLER: 0
; COMPUTE_PGM_RSRC2:TGID_X_EN: 1
; COMPUTE_PGM_RSRC2:TGID_Y_EN: 0
; COMPUTE_PGM_RSRC2:TGID_Z_EN: 0
; COMPUTE_PGM_RSRC2:TIDIG_COMP_CNT: 0
	.type	__hip_cuid_597fa27a58192ea0,@object ; @__hip_cuid_597fa27a58192ea0
	.section	.bss,"aw",@nobits
	.globl	__hip_cuid_597fa27a58192ea0
__hip_cuid_597fa27a58192ea0:
	.byte	0                               ; 0x0
	.size	__hip_cuid_597fa27a58192ea0, 1

	.ident	"AMD clang version 19.0.0git (https://github.com/RadeonOpenCompute/llvm-project roc-6.4.0 25133 c7fe45cf4b819c5991fe208aaa96edf142730f1d)"
	.section	".note.GNU-stack","",@progbits
	.addrsig
	.addrsig_sym __hip_cuid_597fa27a58192ea0
	.amdgpu_metadata
---
amdhsa.kernels:
  - .args:
      - .actual_access:  read_only
        .address_space:  global
        .offset:         0
        .size:           8
        .value_kind:     global_buffer
      - .actual_access:  read_only
        .address_space:  global
        .offset:         8
        .size:           8
        .value_kind:     global_buffer
      - .actual_access:  read_only
        .address_space:  global
        .offset:         16
        .size:           8
        .value_kind:     global_buffer
      - .actual_access:  read_only
        .address_space:  global
        .offset:         24
        .size:           8
        .value_kind:     global_buffer
      - .actual_access:  read_only
        .address_space:  global
        .offset:         32
        .size:           8
        .value_kind:     global_buffer
      - .offset:         40
        .size:           8
        .value_kind:     by_value
      - .address_space:  global
        .offset:         48
        .size:           8
        .value_kind:     global_buffer
      - .address_space:  global
        .offset:         56
        .size:           8
        .value_kind:     global_buffer
      - .address_space:  global
        .offset:         64
        .size:           8
        .value_kind:     global_buffer
      - .address_space:  global
        .offset:         72
        .size:           8
        .value_kind:     global_buffer
      - .offset:         80
        .size:           4
        .value_kind:     by_value
      - .address_space:  global
        .offset:         88
        .size:           8
        .value_kind:     global_buffer
      - .address_space:  global
        .offset:         96
        .size:           8
        .value_kind:     global_buffer
    .group_segment_fixed_size: 19208
    .kernarg_segment_align: 8
    .kernarg_segment_size: 104
    .language:       OpenCL C
    .language_version:
      - 2
      - 0
    .max_flat_workgroup_size: 49
    .name:           bluestein_single_fwd_len2401_dim1_sp_op_CI_CI
    .private_segment_fixed_size: 1012
    .sgpr_count:     28
    .sgpr_spill_count: 0
    .symbol:         bluestein_single_fwd_len2401_dim1_sp_op_CI_CI.kd
    .uniform_work_group_size: 1
    .uses_dynamic_stack: false
    .vgpr_count:     256
    .vgpr_spill_count: 263
    .wavefront_size: 64
amdhsa.target:   amdgcn-amd-amdhsa--gfx906
amdhsa.version:
  - 1
  - 2
...

	.end_amdgpu_metadata
